;; amdgpu-corpus repo=ROCm/rocFFT kind=compiled arch=gfx1201 opt=O3
	.text
	.amdgcn_target "amdgcn-amd-amdhsa--gfx1201"
	.amdhsa_code_object_version 6
	.protected	bluestein_single_back_len1386_dim1_sp_op_CI_CI ; -- Begin function bluestein_single_back_len1386_dim1_sp_op_CI_CI
	.globl	bluestein_single_back_len1386_dim1_sp_op_CI_CI
	.p2align	8
	.type	bluestein_single_back_len1386_dim1_sp_op_CI_CI,@function
bluestein_single_back_len1386_dim1_sp_op_CI_CI: ; @bluestein_single_back_len1386_dim1_sp_op_CI_CI
; %bb.0:
	s_load_b128 s[8:11], s[0:1], 0x28
	v_mul_u32_u24_e32 v1, 0x11c, v0
	s_mov_b32 s2, exec_lo
	v_mov_b32_e32 v69, 0
	s_delay_alu instid0(VALU_DEP_2) | instskip(NEXT) | instid1(VALU_DEP_1)
	v_lshrrev_b32_e32 v1, 16, v1
	v_add_nc_u32_e32 v68, ttmp9, v1
	s_wait_kmcnt 0x0
	s_delay_alu instid0(VALU_DEP_1)
	v_cmpx_gt_u64_e64 s[8:9], v[68:69]
	s_cbranch_execz .LBB0_18
; %bb.1:
	s_load_b128 s[4:7], s[0:1], 0x18
	v_mul_lo_u16 v1, 0xe7, v1
                                        ; implicit-def: $vgpr24
	s_delay_alu instid0(VALU_DEP_1) | instskip(NEXT) | instid1(VALU_DEP_1)
	v_sub_nc_u16 v16, v0, v1
	v_and_b32_e32 v83, 0xffff, v16
	s_delay_alu instid0(VALU_DEP_1)
	v_lshlrev_b32_e32 v84, 3, v83
	s_wait_kmcnt 0x0
	s_load_b128 s[12:15], s[4:5], 0x0
	s_wait_kmcnt 0x0
	v_mad_co_u64_u32 v[0:1], null, s14, v68, 0
	v_mad_co_u64_u32 v[2:3], null, s12, v83, 0
	s_mul_u64 s[2:3], s[12:13], 0x15a8
	s_mul_i32 s4, s13, 0xfffff190
	s_delay_alu instid0(SALU_CYCLE_1) | instskip(NEXT) | instid1(VALU_DEP_1)
	s_sub_co_i32 s4, s4, s12
	v_mad_co_u64_u32 v[4:5], null, s15, v68, v[1:2]
	s_delay_alu instid0(VALU_DEP_1) | instskip(SKIP_1) | instid1(VALU_DEP_1)
	v_mad_co_u64_u32 v[5:6], null, s13, v83, v[3:4]
	v_mov_b32_e32 v1, v4
	v_lshlrev_b64_e32 v[0:1], 3, v[0:1]
	s_delay_alu instid0(VALU_DEP_3) | instskip(NEXT) | instid1(VALU_DEP_2)
	v_mov_b32_e32 v3, v5
	v_add_co_u32 v0, vcc_lo, s10, v0
	s_delay_alu instid0(VALU_DEP_2) | instskip(NEXT) | instid1(VALU_DEP_4)
	v_lshlrev_b64_e32 v[2:3], 3, v[2:3]
	v_add_co_ci_u32_e32 v1, vcc_lo, s11, v1, vcc_lo
	s_load_b128 s[8:11], s[0:1], 0x0
	s_delay_alu instid0(VALU_DEP_2) | instskip(SKIP_1) | instid1(VALU_DEP_2)
	v_add_co_u32 v0, vcc_lo, v0, v2
	s_wait_alu 0xfffd
	v_add_co_ci_u32_e32 v1, vcc_lo, v1, v3, vcc_lo
	s_delay_alu instid0(VALU_DEP_2) | instskip(SKIP_1) | instid1(VALU_DEP_2)
	v_add_co_u32 v2, vcc_lo, v0, s2
	s_wait_alu 0xfffd
	v_add_co_ci_u32_e32 v3, vcc_lo, s3, v1, vcc_lo
	s_delay_alu instid0(VALU_DEP_1) | instskip(NEXT) | instid1(VALU_DEP_1)
	v_mad_co_u64_u32 v[4:5], null, 0xfffff190, s12, v[2:3]
	v_add_nc_u32_e32 v5, s4, v5
	s_delay_alu instid0(VALU_DEP_2) | instskip(SKIP_1) | instid1(VALU_DEP_2)
	v_add_co_u32 v6, vcc_lo, v4, s2
	s_wait_alu 0xfffd
	v_add_co_ci_u32_e32 v7, vcc_lo, s3, v5, vcc_lo
	s_delay_alu instid0(VALU_DEP_1) | instskip(NEXT) | instid1(VALU_DEP_1)
	v_mad_co_u64_u32 v[8:9], null, 0xfffff190, s12, v[6:7]
	v_add_nc_u32_e32 v9, s4, v9
	s_delay_alu instid0(VALU_DEP_2) | instskip(SKIP_1) | instid1(VALU_DEP_2)
	v_add_co_u32 v10, vcc_lo, v8, s2
	s_wait_alu 0xfffd
	v_add_co_ci_u32_e32 v11, vcc_lo, s3, v9, vcc_lo
	s_load_b64 s[2:3], s[0:1], 0x38
	s_wait_kmcnt 0x0
	global_load_b64 v[75:76], v84, s[8:9]
	global_load_b64 v[0:1], v[0:1], off
	v_cmp_gt_u16_e32 vcc_lo, 0xc6, v16
	s_wait_loadcnt 0x0
	v_mul_f32_e32 v12, v1, v76
	global_load_b64 v[77:78], v84, s[8:9] offset:5544
	global_load_b64 v[2:3], v[2:3], off
	s_clause 0x1
	global_load_b64 v[79:80], v84, s[8:9] offset:1848
	global_load_b64 v[69:70], v84, s[8:9] offset:7392
	s_clause 0x1
	global_load_b64 v[4:5], v[4:5], off
	global_load_b64 v[6:7], v[6:7], off
	v_mul_f32_e32 v13, v0, v76
	v_fmac_f32_e32 v12, v0, v75
	v_add_co_u32 v26, s0, 0xe7, v83
	s_delay_alu instid0(VALU_DEP_3) | instskip(SKIP_1) | instid1(VALU_DEP_3)
	v_fma_f32 v13, v1, v75, -v13
	v_lshlrev_b32_e32 v90, 4, v83
	v_lshlrev_b32_e32 v89, 4, v26
	s_wait_loadcnt 0x4
	v_mul_f32_e32 v0, v3, v78
	global_load_b64 v[71:72], v84, s[8:9] offset:3696
	global_load_b64 v[8:9], v[8:9], off
	global_load_b64 v[73:74], v84, s[8:9] offset:9240
	global_load_b64 v[10:11], v[10:11], off
	s_wait_loadcnt 0x5
	v_dual_mul_f32 v1, v2, v78 :: v_dual_mul_f32 v14, v5, v80
	v_dual_fmac_f32 v0, v2, v77 :: v_dual_add_nc_u32 v17, 0x1c80, v84
	s_wait_loadcnt 0x4
	v_dual_mul_f32 v2, v7, v70 :: v_dual_mul_f32 v15, v4, v80
	s_delay_alu instid0(VALU_DEP_3) | instskip(SKIP_1) | instid1(VALU_DEP_3)
	v_fma_f32 v1, v3, v77, -v1
	v_dual_fmac_f32 v14, v4, v79 :: v_dual_mul_f32 v3, v6, v70
	v_fmac_f32_e32 v2, v6, v69
	s_delay_alu instid0(VALU_DEP_4)
	v_fma_f32 v15, v5, v79, -v15
	s_load_b128 s[4:7], s[6:7], 0x0
	s_wait_loadcnt 0x2
	v_mul_f32_e32 v4, v9, v72
	s_wait_loadcnt 0x0
	v_dual_mul_f32 v5, v8, v72 :: v_dual_mul_f32 v6, v11, v74
	v_mul_f32_e32 v18, v10, v74
	v_fma_f32 v3, v7, v69, -v3
	v_fmac_f32_e32 v4, v8, v71
	v_add_nc_u32_e32 v8, 0xe00, v84
	v_fma_f32 v5, v9, v71, -v5
	v_fmac_f32_e32 v6, v10, v73
	v_fma_f32 v7, v11, v73, -v18
	ds_store_b64 v84, v[0:1] offset:5544
	ds_store_2addr_b64 v84, v[12:13], v[14:15] offset1:231
	ds_store_b64 v84, v[4:5] offset:3696
	ds_store_2addr_b64 v17, v[2:3], v[6:7] offset0:12 offset1:243
	global_wb scope:SCOPE_SE
	s_wait_dscnt 0x0
	s_wait_kmcnt 0x0
	s_barrier_signal -1
	s_barrier_wait -1
	global_inv scope:SCOPE_SE
	ds_load_2addr_b64 v[0:3], v84 offset1:231
	ds_load_2addr_b64 v[4:7], v8 offset0:14 offset1:245
	ds_load_2addr_b64 v[8:11], v17 offset0:12 offset1:243
	v_add_co_ci_u32_e64 v12, null, 0, 0, s0
	global_wb scope:SCOPE_SE
	s_wait_dscnt 0x0
	s_barrier_signal -1
	s_barrier_wait -1
	global_inv scope:SCOPE_SE
	v_dual_sub_f32 v14, v0, v6 :: v_dual_sub_f32 v19, v5, v11
	v_dual_sub_f32 v15, v1, v7 :: v_dual_sub_f32 v22, v2, v8
	;; [unrolled: 1-line block ×3, first 2 shown]
	s_delay_alu instid0(VALU_DEP_3) | instskip(NEXT) | instid1(VALU_DEP_3)
	v_fma_f32 v12, v0, 2.0, -v14
	v_fma_f32 v13, v1, 2.0, -v15
	s_delay_alu instid0(VALU_DEP_4) | instskip(NEXT) | instid1(VALU_DEP_4)
	v_fma_f32 v20, v2, 2.0, -v22
	v_fma_f32 v21, v3, 2.0, -v23
	;; [unrolled: 1-line block ×4, first 2 shown]
	ds_store_b128 v90, v[12:15]
	ds_store_b128 v89, v[20:23]
	ds_store_b128 v90, v[16:19] offset:7392
	global_wb scope:SCOPE_SE
	s_wait_dscnt 0x0
	s_barrier_signal -1
	s_barrier_wait -1
	global_inv scope:SCOPE_SE
	s_and_saveexec_b32 s0, vcc_lo
	s_cbranch_execz .LBB0_3
; %bb.2:
	v_add_nc_u32_e32 v0, 0xc00, v84
	v_add_nc_u32_e32 v1, 0x1800, v84
	ds_load_2addr_b64 v[12:15], v84 offset1:198
	ds_load_2addr_b64 v[20:23], v0 offset0:12 offset1:210
	ds_load_2addr_b64 v[16:19], v1 offset0:24 offset1:222
	ds_load_b64 v[24:25], v84 offset:9504
.LBB0_3:
	s_wait_alu 0xfffe
	s_or_b32 exec_lo, exec_lo, s0
	v_and_b32_e32 v86, 1, v83
	v_lshrrev_b32_e32 v88, 1, v83
	s_delay_alu instid0(VALU_DEP_2) | instskip(NEXT) | instid1(VALU_DEP_1)
	v_mul_u32_u24_e32 v0, 6, v86
	v_lshlrev_b32_e32 v0, 3, v0
	s_clause 0x2
	global_load_b128 v[8:11], v0, s[10:11]
	global_load_b128 v[4:7], v0, s[10:11] offset:16
	global_load_b128 v[0:3], v0, s[10:11] offset:32
	global_wb scope:SCOPE_SE
	s_wait_loadcnt_dscnt 0x0
	s_barrier_signal -1
	s_barrier_wait -1
	global_inv scope:SCOPE_SE
	v_mul_f32_e32 v29, v21, v11
	v_mul_f32_e32 v27, v15, v9
	v_dual_mul_f32 v28, v14, v9 :: v_dual_mul_f32 v33, v17, v7
	v_dual_mul_f32 v30, v20, v11 :: v_dual_mul_f32 v31, v23, v5
	;; [unrolled: 1-line block ×4, first 2 shown]
	v_fma_f32 v14, v14, v8, -v27
	v_fma_f32 v16, v16, v6, -v33
	v_fmac_f32_e32 v30, v21, v10
	v_fma_f32 v21, v24, v2, -v37
	v_mul_f32_e32 v38, v24, v3
	v_fmac_f32_e32 v28, v15, v8
	v_fma_f32 v15, v20, v10, -v29
	v_fma_f32 v20, v22, v4, -v31
	v_dual_sub_f32 v27, v14, v21 :: v_dual_fmac_f32 v34, v17, v6
	v_dual_add_f32 v17, v14, v21 :: v_dual_fmac_f32 v38, v25, v2
	v_mul_f32_e32 v36, v18, v1
	v_fma_f32 v18, v18, v0, -v35
	s_delay_alu instid0(VALU_DEP_1) | instskip(NEXT) | instid1(VALU_DEP_4)
	v_sub_f32_e32 v29, v15, v18
	v_dual_fmac_f32 v32, v23, v4 :: v_dual_add_f32 v23, v28, v38
	s_delay_alu instid0(VALU_DEP_4) | instskip(SKIP_3) | instid1(VALU_DEP_1)
	v_fmac_f32_e32 v36, v19, v0
	v_add_f32_e32 v19, v15, v18
	v_add_f32_e32 v15, v20, v16
	v_sub_f32_e32 v16, v16, v20
	v_add_f32_e32 v33, v16, v29
	v_dual_add_f32 v21, v32, v34 :: v_dual_sub_f32 v18, v30, v36
	s_delay_alu instid0(VALU_DEP_1) | instskip(SKIP_1) | instid1(VALU_DEP_2)
	v_dual_sub_f32 v37, v23, v21 :: v_dual_sub_f32 v14, v28, v38
	v_add_f32_e32 v28, v30, v36
	v_dual_add_f32 v36, v33, v27 :: v_dual_mul_f32 v37, 0x3f4a47b2, v37
	s_delay_alu instid0(VALU_DEP_2) | instskip(SKIP_3) | instid1(VALU_DEP_3)
	v_sub_f32_e32 v31, v21, v28
	v_sub_f32_e32 v20, v34, v32
	v_add_f32_e32 v22, v19, v17
	v_add_f32_e32 v30, v28, v23
	v_dual_fmamk_f32 v40, v31, 0x3d64c772, v37 :: v_dual_add_f32 v35, v20, v18
	s_delay_alu instid0(VALU_DEP_3) | instskip(NEXT) | instid1(VALU_DEP_3)
	v_add_f32_e32 v22, v15, v22
	v_dual_add_f32 v21, v21, v30 :: v_dual_sub_f32 v34, v15, v19
	s_delay_alu instid0(VALU_DEP_3) | instskip(SKIP_1) | instid1(VALU_DEP_3)
	v_dual_add_f32 v35, v35, v14 :: v_dual_sub_f32 v32, v17, v15
	v_sub_f32_e32 v25, v20, v18
	v_add_f32_e32 v13, v13, v21
	s_delay_alu instid0(VALU_DEP_3) | instskip(NEXT) | instid1(VALU_DEP_2)
	v_dual_mul_f32 v33, 0x3f4a47b2, v32 :: v_dual_sub_f32 v24, v16, v29
	v_fmamk_f32 v30, v21, 0xbf955555, v13
	s_delay_alu instid0(VALU_DEP_2) | instskip(NEXT) | instid1(VALU_DEP_1)
	v_dual_fmamk_f32 v39, v34, 0x3d64c772, v33 :: v_dual_sub_f32 v16, v27, v16
	v_mul_f32_e32 v38, 0x3eae86e6, v16
	s_delay_alu instid0(VALU_DEP_1) | instskip(NEXT) | instid1(VALU_DEP_1)
	v_fmamk_f32 v15, v24, 0xbf08b237, v38
	v_fmac_f32_e32 v15, 0x3ee1c552, v36
	v_sub_f32_e32 v20, v14, v20
	v_add_f32_e32 v12, v12, v22
	s_delay_alu instid0(VALU_DEP_2) | instskip(NEXT) | instid1(VALU_DEP_2)
	v_mul_f32_e32 v32, 0x3eae86e6, v20
	v_fmamk_f32 v20, v22, 0xbf955555, v12
	v_add_f32_e32 v22, v40, v30
	s_delay_alu instid0(VALU_DEP_2) | instskip(NEXT) | instid1(VALU_DEP_1)
	v_dual_fmamk_f32 v16, v25, 0xbf08b237, v32 :: v_dual_add_f32 v21, v39, v20
	v_dual_add_f32 v45, v15, v22 :: v_dual_fmac_f32 v16, 0x3ee1c552, v35
	s_delay_alu instid0(VALU_DEP_1)
	v_sub_f32_e32 v44, v21, v16
	s_and_saveexec_b32 s0, vcc_lo
	s_cbranch_execz .LBB0_5
; %bb.4:
	v_sub_f32_e32 v27, v29, v27
	v_dual_sub_f32 v17, v19, v17 :: v_dual_mul_f32 v24, 0xbf08b237, v24
	v_dual_mul_f32 v29, 0x3ee1c552, v36 :: v_dual_sub_f32 v14, v18, v14
	v_dual_sub_f32 v23, v28, v23 :: v_dual_mul_f32 v28, 0x3d64c772, v34
	s_delay_alu instid0(VALU_DEP_4) | instskip(NEXT) | instid1(VALU_DEP_4)
	v_fma_f32 v34, 0xbf5ff5aa, v27, -v38
	v_fma_f32 v24, 0x3f5ff5aa, v27, -v24
	v_mul_f32_e32 v31, 0x3d64c772, v31
	v_fma_f32 v33, 0xbf3bfb3b, v17, -v33
	v_fma_f32 v32, 0xbf5ff5aa, v14, -v32
	v_add_f32_e32 v34, v29, v34
	v_add_f32_e32 v24, v29, v24
	v_fma_f32 v36, 0xbf3bfb3b, v23, -v37
	v_mul_f32_e32 v25, 0xbf08b237, v25
	v_fma_f32 v23, 0x3f3bfb3b, v23, -v31
	v_fma_f32 v17, 0x3f3bfb3b, v17, -v28
	v_sub_f32_e32 v15, v22, v15
	s_delay_alu instid0(VALU_DEP_4) | instskip(NEXT) | instid1(VALU_DEP_4)
	v_fma_f32 v14, 0x3f5ff5aa, v14, -v25
	v_add_f32_e32 v23, v23, v30
	v_mul_f32_e32 v19, 0x3ee1c552, v35
	v_add_f32_e32 v33, v33, v20
	v_add_f32_e32 v29, v17, v20
	s_delay_alu instid0(VALU_DEP_4) | instskip(NEXT) | instid1(VALU_DEP_4)
	v_sub_f32_e32 v20, v23, v24
	v_add_f32_e32 v25, v19, v32
	v_add_f32_e32 v19, v19, v14
	v_mul_u32_u24_e32 v14, 14, v88
	v_add_f32_e32 v24, v24, v23
	s_delay_alu instid0(VALU_DEP_2) | instskip(SKIP_2) | instid1(VALU_DEP_3)
	v_or_b32_e32 v27, v14, v86
	v_add_f32_e32 v14, v16, v21
	v_add_f32_e32 v35, v36, v30
	v_dual_sub_f32 v17, v33, v25 :: v_dual_lshlrev_b32 v16, 3, v27
	s_delay_alu instid0(VALU_DEP_2)
	v_dual_add_f32 v27, v25, v33 :: v_dual_sub_f32 v28, v35, v34
	v_sub_f32_e32 v23, v29, v19
	v_dual_add_f32 v18, v34, v35 :: v_dual_add_f32 v19, v19, v29
	ds_store_2addr_b64 v16, v[12:13], v[14:15] offset1:2
	ds_store_2addr_b64 v16, v[27:28], v[23:24] offset0:4 offset1:6
	ds_store_2addr_b64 v16, v[19:20], v[17:18] offset0:8 offset1:10
	ds_store_b64 v16, v[44:45] offset:96
.LBB0_5:
	s_wait_alu 0xfffe
	s_or_b32 exec_lo, exec_lo, s0
	v_lshrrev_b16 v12, 1, v83
	v_lshrrev_b16 v13, 1, v26
	global_wb scope:SCOPE_SE
	s_wait_dscnt 0x0
	s_barrier_signal -1
	s_barrier_wait -1
	v_and_b32_e32 v12, 0x7f, v12
	v_and_b32_e32 v13, 0xffff, v13
	global_inv scope:SCOPE_SE
                                        ; implicit-def: $vgpr56
                                        ; implicit-def: $vgpr62
	v_mul_lo_u16 v14, 0x93, v12
	v_mul_u32_u24_e32 v13, 0x4925, v13
	s_delay_alu instid0(VALU_DEP_2) | instskip(NEXT) | instid1(VALU_DEP_2)
	v_lshrrev_b16 v21, 10, v14
	v_lshrrev_b32_e32 v22, 17, v13
	s_delay_alu instid0(VALU_DEP_2) | instskip(NEXT) | instid1(VALU_DEP_2)
	v_mul_lo_u16 v13, v21, 14
	v_mul_lo_u16 v14, v22, 14
	v_and_b32_e32 v21, 0xffff, v21
	s_delay_alu instid0(VALU_DEP_3) | instskip(NEXT) | instid1(VALU_DEP_3)
	v_sub_nc_u16 v13, v83, v13
	v_sub_nc_u16 v23, v26, v14
	s_delay_alu instid0(VALU_DEP_3) | instskip(NEXT) | instid1(VALU_DEP_3)
	v_mul_u32_u24_e32 v21, 42, v21
	v_and_b32_e32 v32, 0xff, v13
	s_delay_alu instid0(VALU_DEP_3) | instskip(SKIP_1) | instid1(VALU_DEP_3)
	v_lshlrev_b16 v13, 4, v23
	v_mad_u16 v22, v22, 42, v23
	v_lshlrev_b32_e32 v14, 4, v32
	global_load_b128 v[24:27], v14, s[10:11] offset:96
	v_and_b32_e32 v13, 0xffff, v13
	v_add_nc_u32_e32 v17, 0x1c80, v84
	s_delay_alu instid0(VALU_DEP_2)
	v_add_co_u32 v13, s0, s10, v13
	s_wait_alu 0xf1ff
	v_add_co_ci_u32_e64 v14, null, s11, 0, s0
	v_add_co_u32 v60, s0, s8, v84
	s_wait_alu 0xf1ff
	v_add_co_ci_u32_e64 v61, null, s9, 0, s0
	global_load_b128 v[28:31], v[13:14], off offset:96
	v_add_nc_u32_e32 v13, 0xe00, v84
	v_cmp_gt_u16_e64 s0, 0x7e, v83
	ds_load_2addr_b64 v[13:16], v13 offset0:14 offset1:245
	ds_load_2addr_b64 v[17:20], v17 offset0:12 offset1:243
	v_and_b32_e32 v22, 0xffff, v22
	ds_load_2addr_b64 v[48:51], v84 offset1:231
	v_lshlrev_b32_e32 v64, 1, v83
	global_wb scope:SCOPE_SE
	s_wait_loadcnt_dscnt 0x0
	s_barrier_signal -1
	s_barrier_wait -1
	global_inv scope:SCOPE_SE
	v_mul_f32_e32 v23, v18, v27
	v_add_lshl_u32 v92, v21, v32, 3
	v_dual_mul_f32 v32, v17, v27 :: v_dual_mul_f32 v21, v14, v25
	s_delay_alu instid0(VALU_DEP_1) | instskip(SKIP_1) | instid1(VALU_DEP_3)
	v_fmac_f32_e32 v32, v18, v26
	v_dual_mul_f32 v22, v13, v25 :: v_dual_lshlrev_b32 v91, 3, v22
	v_fma_f32 v13, v13, v24, -v21
	s_delay_alu instid0(VALU_DEP_2) | instskip(SKIP_4) | instid1(VALU_DEP_4)
	v_fmac_f32_e32 v22, v14, v24
	v_fma_f32 v14, v17, v26, -v23
	v_mul_f32_e32 v17, v16, v29
	v_mul_f32_e32 v21, v15, v29
	;; [unrolled: 1-line block ×3, first 2 shown]
	v_dual_mul_f32 v33, v19, v31 :: v_dual_add_f32 v18, v13, v14
	s_delay_alu instid0(VALU_DEP_4) | instskip(NEXT) | instid1(VALU_DEP_2)
	v_fma_f32 v15, v15, v28, -v17
	v_fmac_f32_e32 v33, v20, v30
	v_add_f32_e32 v20, v49, v22
	s_delay_alu instid0(VALU_DEP_4)
	v_fma_f32 v52, -0.5, v18, v48
	v_add_f32_e32 v17, v48, v13
	v_fmac_f32_e32 v21, v16, v28
	v_fma_f32 v16, v19, v30, -v23
	v_sub_f32_e32 v19, v22, v32
	v_add_f32_e32 v22, v22, v32
	s_delay_alu instid0(VALU_DEP_2)
	v_fmamk_f32 v42, v19, 0x3f5db3d7, v52
	v_add_f32_e32 v40, v17, v14
	v_dual_sub_f32 v13, v13, v14 :: v_dual_add_f32 v14, v50, v15
	v_dual_sub_f32 v18, v21, v33 :: v_dual_add_f32 v41, v20, v32
	v_dual_fmac_f32 v52, 0xbf5db3d7, v19 :: v_dual_add_f32 v17, v15, v16
	v_add_f32_e32 v20, v51, v21
	s_delay_alu instid0(VALU_DEP_4) | instskip(SKIP_1) | instid1(VALU_DEP_4)
	v_dual_add_f32 v21, v21, v33 :: v_dual_add_f32 v54, v14, v16
	v_fma_f32 v53, -0.5, v22, v49
	v_fma_f32 v50, -0.5, v17, v50
	v_sub_f32_e32 v15, v15, v16
	s_delay_alu instid0(VALU_DEP_4) | instskip(SKIP_3) | instid1(VALU_DEP_4)
	v_fmac_f32_e32 v51, -0.5, v21
	v_add_f32_e32 v55, v20, v33
	v_fmamk_f32 v43, v13, 0xbf5db3d7, v53
	v_dual_fmac_f32 v53, 0x3f5db3d7, v13 :: v_dual_fmamk_f32 v48, v18, 0x3f5db3d7, v50
	v_dual_fmac_f32 v50, 0xbf5db3d7, v18 :: v_dual_fmamk_f32 v49, v15, 0xbf5db3d7, v51
	v_fmac_f32_e32 v51, 0x3f5db3d7, v15
	ds_store_2addr_b64 v92, v[40:41], v[42:43] offset1:14
	ds_store_b64 v92, v[52:53] offset:224
	ds_store_2addr_b64 v91, v[54:55], v[48:49] offset1:14
	ds_store_b64 v91, v[50:51] offset:224
	global_wb scope:SCOPE_SE
	s_wait_dscnt 0x0
	s_barrier_signal -1
	s_barrier_wait -1
	global_inv scope:SCOPE_SE
	s_and_saveexec_b32 s1, s0
	s_cbranch_execz .LBB0_7
; %bb.6:
	v_add_nc_u32_e32 v13, 0x400, v84
	v_add_nc_u32_e32 v14, 0xc00, v84
	v_add_nc_u32_e32 v15, 0x1400, v84
	v_add_nc_u32_e32 v16, 0x1c00, v84
	ds_load_2addr_b64 v[40:43], v84 offset1:126
	ds_load_2addr_b64 v[52:55], v13 offset0:124 offset1:250
	ds_load_2addr_b64 v[48:51], v14 offset0:120 offset1:246
	;; [unrolled: 1-line block ×4, first 2 shown]
	ds_load_b64 v[62:63], v84 offset:10080
.LBB0_7:
	s_wait_alu 0xfffe
	s_or_b32 exec_lo, exec_lo, s1
	v_mul_lo_u16 v12, v12, 49
	s_delay_alu instid0(VALU_DEP_1) | instskip(NEXT) | instid1(VALU_DEP_1)
	v_lshrrev_b16 v65, 10, v12
	v_mul_lo_u16 v12, v65, 42
	s_delay_alu instid0(VALU_DEP_1) | instskip(NEXT) | instid1(VALU_DEP_1)
	v_sub_nc_u16 v12, v83, v12
	v_and_b32_e32 v85, 0xff, v12
	s_delay_alu instid0(VALU_DEP_1)
	v_mad_co_u64_u32 v[36:37], null, 0x50, v85, s[10:11]
	s_clause 0x4
	global_load_b128 v[32:35], v[36:37], off offset:320
	global_load_b128 v[20:23], v[36:37], off offset:336
	;; [unrolled: 1-line block ×5, first 2 shown]
	v_and_b32_e32 v87, 0xffff, v65
	global_wb scope:SCOPE_SE
	s_wait_loadcnt_dscnt 0x0
	s_barrier_signal -1
	s_barrier_wait -1
	global_inv scope:SCOPE_SE
	v_mul_f32_e32 v82, v53, v35
	v_mul_f32_e32 v102, v42, v33
	v_dual_mul_f32 v81, v43, v33 :: v_dual_mul_f32 v100, v49, v23
	v_dual_mul_f32 v109, v57, v19 :: v_dual_mul_f32 v110, v59, v37
	s_delay_alu instid0(VALU_DEP_3) | instskip(SKIP_2) | instid1(VALU_DEP_4)
	v_dual_mul_f32 v65, v62, v39 :: v_dual_fmac_f32 v102, v43, v32
	v_fma_f32 v105, v52, v34, -v82
	v_dual_mul_f32 v97, v48, v23 :: v_dual_mul_f32 v96, v50, v13
	v_fma_f32 v43, v58, v36, -v110
	v_mul_f32_e32 v101, v51, v13
	v_fmac_f32_e32 v65, v63, v38
	v_dual_mul_f32 v99, v52, v35 :: v_dual_mul_f32 v98, v54, v21
	s_delay_alu instid0(VALU_DEP_4) | instskip(NEXT) | instid1(VALU_DEP_4)
	v_add_f32_e32 v148, v105, v43
	v_fma_f32 v101, v50, v12, -v101
	v_sub_f32_e32 v50, v105, v43
	v_dual_mul_f32 v111, v63, v39 :: v_dual_add_f32 v154, v102, v65
	v_dual_mul_f32 v107, v45, v15 :: v_dual_mul_f32 v108, v47, v17
	v_dual_mul_f32 v95, v44, v15 :: v_dual_mul_f32 v94, v46, v17
	;; [unrolled: 1-line block ×3, first 2 shown]
	v_fma_f32 v106, v42, v32, -v81
	v_fma_f32 v42, v62, v38, -v111
	v_mul_f32_e32 v93, v55, v21
	v_dual_fmac_f32 v99, v53, v34 :: v_dual_fmac_f32 v98, v55, v20
	v_fma_f32 v103, v48, v22, -v100
	v_dual_fmac_f32 v97, v49, v22 :: v_dual_fmac_f32 v96, v51, v12
	v_fma_f32 v100, v44, v14, -v107
	;; [unrolled: 2-line block ×3, first 2 shown]
	v_fma_f32 v44, v56, v18, -v109
	v_dual_fmac_f32 v67, v57, v18 :: v_dual_fmac_f32 v66, v59, v36
	v_sub_f32_e32 v48, v106, v42
	v_fma_f32 v104, v54, v20, -v93
	v_dual_sub_f32 v49, v102, v65 :: v_dual_add_f32 v128, v101, v100
	s_delay_alu instid0(VALU_DEP_4) | instskip(SKIP_1) | instid1(VALU_DEP_4)
	v_dual_add_f32 v149, v99, v66 :: v_dual_add_f32 v146, v98, v67
	v_dual_sub_f32 v51, v99, v66 :: v_dual_add_f32 v136, v96, v95
	v_dual_add_f32 v145, v104, v44 :: v_dual_sub_f32 v54, v103, v45
	s_delay_alu instid0(VALU_DEP_2)
	v_dual_sub_f32 v55, v97, v94 :: v_dual_mul_f32 v112, 0xbf4178ce, v51
	v_dual_mul_f32 v119, 0xbf4178ce, v50 :: v_dual_mul_f32 v142, 0xbf4178ce, v48
	v_dual_add_f32 v153, v106, v42 :: v_dual_sub_f32 v52, v104, v44
	v_dual_sub_f32 v53, v98, v67 :: v_dual_mul_f32 v108, 0xbf0a6770, v48
	v_dual_add_f32 v143, v103, v45 :: v_dual_sub_f32 v82, v96, v95
	v_dual_mul_f32 v63, 0xbf0a6770, v49 :: v_dual_mul_f32 v118, 0xbf0a6770, v55
	v_dual_mul_f32 v116, 0x3f7d64f0, v54 :: v_dual_mul_f32 v133, 0x3f7d64f0, v51
	;; [unrolled: 1-line block ×3, first 2 shown]
	v_fma_f32 v161, 0xbf27a4f4, v149, -v119
	v_dual_mul_f32 v158, 0xbe903f40, v48 :: v_dual_add_f32 v139, v97, v94
	v_mul_f32_e32 v120, 0xbf68dda4, v48
	v_dual_mul_f32 v46, 0xbe903f40, v82 :: v_dual_mul_f32 v155, 0xbe903f40, v49
	v_dual_fmamk_f32 v48, v153, 0x3f575c64, v63 :: v_dual_fmamk_f32 v171, v143, 0x3f575c64, v118
	v_mul_f32_e32 v113, 0xbf68dda4, v49
	v_dual_fmamk_f32 v168, v153, 0xbe11bafb, v124 :: v_dual_fmamk_f32 v179, v148, 0xbe11bafb, v133
	v_mul_f32_e32 v107, 0xbf68dda4, v50
	v_fma_f32 v173, 0xbe11bafb, v154, -v131
	v_fma_f32 v180, 0xbf27a4f4, v154, -v142
	s_delay_alu instid0(VALU_DEP_4)
	v_dual_add_f32 v168, v40, v168 :: v_dual_mul_f32 v129, 0x3e903f40, v50
	v_fma_f32 v190, 0xbf75a155, v154, -v158
	v_mul_f32_e32 v137, 0xbf4178ce, v49
	v_fma_f32 v49, 0x3f575c64, v154, -v108
	v_dual_sub_f32 v81, v101, v100 :: v_dual_mul_f32 v58, 0xbf4178ce, v54
	v_dual_mul_f32 v57, 0xbf7d64f0, v53 :: v_dual_mul_f32 v62, 0xbf7d64f0, v52
	v_dual_mul_f32 v111, 0x3e903f40, v53 :: v_dual_mul_f32 v122, 0x3e903f40, v51
	;; [unrolled: 1-line block ×3, first 2 shown]
	v_dual_mul_f32 v110, 0x3f7d64f0, v55 :: v_dual_add_f32 v49, v41, v49
	v_dual_mul_f32 v117, 0xbf4178ce, v82 :: v_dual_mul_f32 v156, 0xbf4178ce, v52
	v_dual_mul_f32 v127, 0x3f68dda4, v52 :: v_dual_mul_f32 v134, 0x3f68dda4, v81
	v_dual_mul_f32 v138, 0xbf0a6770, v52 :: v_dual_add_f32 v173, v41, v173
	v_dual_add_f32 v48, v40, v48 :: v_dual_mul_f32 v151, 0x3f0a6770, v51
	v_add_f32_e32 v180, v41, v180
	v_fma_f32 v174, 0xbf75a155, v149, -v129
	v_mul_f32_e32 v144, 0x3f68dda4, v55
	v_dual_add_f32 v190, v41, v190 :: v_dual_fmamk_f32 v93, v148, 0xbf27a4f4, v112
	v_fmamk_f32 v178, v153, 0xbf27a4f4, v137
	v_mul_f32_e32 v115, 0x3e903f40, v52
	v_fmamk_f32 v52, v153, 0x3ed4b147, v113
	v_mul_f32_e32 v59, 0xbf68dda4, v51
	v_fma_f32 v51, 0x3ed4b147, v149, -v107
	v_mul_f32_e32 v130, 0xbe903f40, v55
	v_fma_f32 v55, 0x3ed4b147, v154, -v120
	v_dual_mul_f32 v125, 0xbf0a6770, v54 :: v_dual_mul_f32 v132, 0xbf0a6770, v53
	v_mul_f32_e32 v140, 0x3f7d64f0, v50
	v_dual_fmamk_f32 v169, v148, 0xbf75a155, v122 :: v_dual_fmamk_f32 v188, v153, 0xbf75a155, v155
	v_dual_add_f32 v52, v40, v52 :: v_dual_mul_f32 v157, 0x3f0a6770, v50
	v_dual_add_f32 v55, v41, v55 :: v_dual_add_f32 v178, v40, v178
	v_fmamk_f32 v50, v148, 0x3ed4b147, v59
	v_dual_mul_f32 v121, 0x3f68dda4, v53 :: v_dual_mul_f32 v126, 0x3f68dda4, v82
	v_dual_mul_f32 v123, 0xbf4178ce, v81 :: v_dual_add_f32 v188, v40, v188
	v_dual_fmamk_f32 v53, v145, 0xbe11bafb, v57 :: v_dual_fmamk_f32 v164, v143, 0xbe11bafb, v110
	v_fma_f32 v175, 0x3ed4b147, v146, -v127
	v_fma_f32 v181, 0xbe11bafb, v149, -v140
	v_add_f32_e32 v48, v50, v48
	v_dual_fmamk_f32 v182, v145, 0x3f575c64, v132 :: v_dual_fmamk_f32 v189, v148, 0x3f575c64, v151
	v_dual_add_f32 v49, v51, v49 :: v_dual_add_f32 v50, v93, v52
	v_fma_f32 v191, 0x3f575c64, v149, -v157
	v_add_f32_e32 v51, v161, v55
	v_add_f32_e32 v55, v174, v173
	v_dual_mul_f32 v56, 0xbe903f40, v81 :: v_dual_mul_f32 v135, 0xbe903f40, v54
	v_dual_mul_f32 v109, 0x3f0a6770, v82 :: v_dual_mul_f32 v114, 0x3f0a6770, v81
	v_dual_mul_f32 v152, 0x3f68dda4, v54 :: v_dual_add_f32 v161, v181, v180
	v_dual_mul_f32 v141, 0xbf7d64f0, v82 :: v_dual_add_f32 v52, v169, v168
	;; [unrolled: 1-line block ×3, first 2 shown]
	v_fma_f32 v54, 0xbe11bafb, v146, -v62
	v_dual_fmamk_f32 v81, v143, 0xbf27a4f4, v47 :: v_dual_fmamk_f32 v192, v145, 0xbf27a4f4, v150
	v_dual_fmamk_f32 v159, v128, 0xbf75a155, v46 :: v_dual_fmamk_f32 v162, v145, 0xbf75a155, v111
	v_fma_f32 v163, 0xbf75a155, v146, -v115
	v_fmamk_f32 v170, v145, 0x3ed4b147, v121
	v_fmamk_f32 v172, v128, 0xbf27a4f4, v117
	v_fma_f32 v176, 0x3f575c64, v139, -v125
	v_fma_f32 v183, 0x3f575c64, v146, -v138
	;; [unrolled: 1-line block ×3, first 2 shown]
	v_add_f32_e32 v93, v179, v178
	v_dual_add_f32 v169, v191, v190 :: v_dual_add_f32 v48, v53, v48
	v_add_f32_e32 v53, v175, v55
	v_fma_f32 v82, 0xbf27a4f4, v139, -v58
	v_fma_f32 v165, 0xbe11bafb, v139, -v116
	v_dual_fmamk_f32 v166, v128, 0x3f575c64, v109 :: v_dual_add_f32 v49, v54, v49
	v_fmamk_f32 v184, v143, 0xbf75a155, v130
	v_fma_f32 v185, 0xbf75a155, v139, -v135
	v_dual_fmamk_f32 v186, v128, 0x3ed4b147, v126 :: v_dual_add_f32 v55, v183, v161
	v_dual_fmamk_f32 v194, v143, 0x3ed4b147, v144 :: v_dual_add_f32 v161, v193, v169
	v_fma_f32 v195, 0x3ed4b147, v139, -v152
	v_dual_add_f32 v51, v163, v51 :: v_dual_add_f32 v50, v162, v50
	s_delay_alu instid0(VALU_DEP_4)
	v_dual_add_f32 v52, v170, v52 :: v_dual_add_f32 v163, v185, v55
	v_dual_add_f32 v53, v176, v53 :: v_dual_add_f32 v48, v81, v48
	;; [unrolled: 1-line block ×3, first 2 shown]
	v_fma_f32 v160, 0xbf75a155, v136, -v56
	v_fma_f32 v167, 0x3f575c64, v136, -v114
	;; [unrolled: 1-line block ×4, first 2 shown]
	v_dual_fmamk_f32 v196, v128, 0xbe11bafb, v141 :: v_dual_add_f32 v49, v82, v49
	v_fma_f32 v197, 0xbe11bafb, v136, -v147
	v_dual_add_f32 v51, v165, v51 :: v_dual_add_f32 v50, v164, v50
	v_add_f32_e32 v161, v195, v161
	v_dual_add_f32 v52, v171, v52 :: v_dual_add_f32 v53, v177, v53
	v_add_f32_e32 v93, v194, v93
	v_dual_add_f32 v81, v159, v48 :: v_dual_add_f32 v162, v184, v54
	v_dual_add_f32 v55, v167, v51 :: v_dual_add_f32 v82, v160, v49
	v_dual_add_f32 v51, v187, v163 :: v_dual_add_f32 v54, v166, v50
	v_dual_add_f32 v49, v197, v161 :: v_dual_add_f32 v52, v172, v52
	s_delay_alu instid0(VALU_DEP_4)
	v_add_f32_e32 v50, v186, v162
	v_dual_add_f32 v48, v196, v93 :: v_dual_add_nc_u32 v93, 0x1ce0, v90
	s_and_saveexec_b32 s1, s0
	s_cbranch_execz .LBB0_9
; %bb.8:
	v_dual_mul_f32 v159, 0x3f575c64, v153 :: v_dual_mul_f32 v160, 0x3f575c64, v154
	v_dual_mul_f32 v161, 0x3ed4b147, v153 :: v_dual_mul_f32 v162, 0x3ed4b147, v154
	v_dual_mul_f32 v163, 0xbe11bafb, v153 :: v_dual_mul_f32 v164, 0xbe11bafb, v154
	v_dual_mul_f32 v165, 0xbf27a4f4, v153 :: v_dual_mul_f32 v166, 0xbf27a4f4, v154
	v_dual_mul_f32 v153, 0xbf75a155, v153 :: v_dual_mul_f32 v154, 0xbf75a155, v154
	v_dual_mul_f32 v167, 0x3ed4b147, v148 :: v_dual_mul_f32 v168, 0x3ed4b147, v149
	v_dual_mul_f32 v169, 0xbf27a4f4, v148 :: v_dual_mul_f32 v170, 0xbf27a4f4, v149
	v_dual_mul_f32 v171, 0xbf75a155, v148 :: v_dual_mul_f32 v172, 0xbf75a155, v149
	v_dual_mul_f32 v173, 0xbe11bafb, v148 :: v_dual_mul_f32 v174, 0xbe11bafb, v149
	v_dual_mul_f32 v148, 0x3f575c64, v148 :: v_dual_mul_f32 v149, 0x3f575c64, v149
	v_dual_mul_f32 v183, 0xbf27a4f4, v143 :: v_dual_add_f32 v154, v158, v154
	v_mul_f32_e32 v184, 0xbf27a4f4, v139
	v_mul_f32_e32 v185, 0xbe11bafb, v143
	s_delay_alu instid0(VALU_DEP_4)
	v_add_f32_e32 v149, v157, v149
	v_sub_f32_e32 v153, v153, v155
	v_dual_add_f32 v154, v41, v154 :: v_dual_mul_f32 v175, 0xbe11bafb, v145
	v_mul_f32_e32 v176, 0xbe11bafb, v146
	v_dual_mul_f32 v177, 0xbf75a155, v145 :: v_dual_mul_f32 v178, 0xbf75a155, v146
	v_dual_mul_f32 v179, 0x3ed4b147, v145 :: v_dual_mul_f32 v180, 0x3ed4b147, v146
	;; [unrolled: 1-line block ×4, first 2 shown]
	v_dual_mul_f32 v186, 0xbe11bafb, v139 :: v_dual_add_f32 v149, v149, v154
	v_dual_mul_f32 v155, 0xbf27a4f4, v128 :: v_dual_sub_f32 v148, v148, v151
	v_dual_mul_f32 v154, 0xbe11bafb, v136 :: v_dual_add_f32 v153, v40, v153
	v_dual_mul_f32 v187, 0x3f575c64, v143 :: v_dual_mul_f32 v192, 0x3f575c64, v128
	v_dual_mul_f32 v188, 0x3f575c64, v139 :: v_dual_mul_f32 v157, 0x3f575c64, v136
	;; [unrolled: 1-line block ×4, first 2 shown]
	v_dual_mul_f32 v143, 0x3ed4b147, v143 :: v_dual_add_f32 v146, v156, v146
	v_mul_f32_e32 v193, 0xbf27a4f4, v136
	v_dual_mul_f32 v151, 0x3ed4b147, v128 :: v_dual_add_f32 v142, v142, v166
	v_dual_sub_f32 v145, v145, v150 :: v_dual_mul_f32 v136, 0x3ed4b147, v136
	s_delay_alu instid0(VALU_DEP_4) | instskip(NEXT) | instid1(VALU_DEP_3)
	v_dual_add_f32 v148, v148, v153 :: v_dual_sub_f32 v143, v143, v144
	v_add_f32_e32 v142, v41, v142
	v_add_f32_e32 v140, v140, v174
	v_mul_f32_e32 v144, 0xbe11bafb, v128
	s_delay_alu instid0(VALU_DEP_4) | instskip(SKIP_3) | instid1(VALU_DEP_3)
	v_add_f32_e32 v145, v145, v148
	v_sub_f32_e32 v137, v165, v137
	v_dual_mul_f32 v139, 0x3ed4b147, v139 :: v_dual_add_f32 v146, v146, v149
	v_dual_add_f32 v140, v140, v142 :: v_dual_sub_f32 v133, v173, v133
	v_dual_add_f32 v134, v134, v136 :: v_dual_add_f32 v137, v40, v137
	s_delay_alu instid0(VALU_DEP_3) | instskip(SKIP_1) | instid1(VALU_DEP_3)
	v_dual_sub_f32 v132, v181, v132 :: v_dual_add_f32 v139, v152, v139
	v_dual_add_f32 v138, v138, v182 :: v_dual_sub_f32 v141, v144, v141
	v_dual_add_f32 v133, v133, v137 :: v_dual_sub_f32 v126, v151, v126
	v_add_f32_e32 v131, v131, v164
	s_delay_alu instid0(VALU_DEP_3) | instskip(NEXT) | instid1(VALU_DEP_3)
	v_dual_add_f32 v139, v139, v146 :: v_dual_add_f32 v138, v138, v140
	v_dual_add_f32 v132, v132, v133 :: v_dual_add_f32 v125, v125, v188
	s_delay_alu instid0(VALU_DEP_3) | instskip(SKIP_3) | instid1(VALU_DEP_4)
	v_dual_add_f32 v120, v120, v162 :: v_dual_add_f32 v131, v41, v131
	v_sub_f32_e32 v124, v163, v124
	v_add_f32_e32 v135, v135, v190
	v_sub_f32_e32 v122, v171, v122
	v_add_f32_e32 v120, v41, v120
	v_add_f32_e32 v116, v116, v186
	s_delay_alu instid0(VALU_DEP_4) | instskip(SKIP_3) | instid1(VALU_DEP_4)
	v_dual_add_f32 v124, v40, v124 :: v_dual_add_f32 v135, v135, v138
	v_add_f32_e32 v129, v129, v172
	v_sub_f32_e32 v133, v189, v130
	v_sub_f32_e32 v112, v169, v112
	v_add_f32_e32 v122, v122, v124
	v_add_f32_e32 v130, v134, v135
	;; [unrolled: 1-line block ×4, first 2 shown]
	v_dual_sub_f32 v117, v155, v117 :: v_dual_add_f32 v62, v62, v176
	v_dual_add_f32 v115, v115, v178 :: v_dual_add_f32 v114, v114, v157
	s_delay_alu instid0(VALU_DEP_3) | instskip(SKIP_3) | instid1(VALU_DEP_4)
	v_add_f32_e32 v129, v131, v129
	v_sub_f32_e32 v57, v175, v57
	v_sub_f32_e32 v63, v159, v63
	v_dual_sub_f32 v121, v179, v121 :: v_dual_sub_f32 v110, v185, v110
	v_dual_add_f32 v125, v125, v129 :: v_dual_add_f32 v106, v40, v106
	v_add_f32_e32 v129, v119, v170
	v_add_f32_e32 v123, v123, v193
	v_sub_f32_e32 v111, v177, v111
	v_sub_f32_e32 v59, v167, v59
	s_delay_alu instid0(VALU_DEP_4) | instskip(NEXT) | instid1(VALU_DEP_4)
	v_dual_add_f32 v105, v106, v105 :: v_dual_add_f32 v120, v129, v120
	v_add_f32_e32 v119, v123, v125
	v_add_f32_e32 v146, v147, v154
	v_dual_add_f32 v121, v121, v122 :: v_dual_add_f32 v108, v108, v160
	s_delay_alu instid0(VALU_DEP_4) | instskip(SKIP_1) | instid1(VALU_DEP_4)
	v_add_f32_e32 v115, v115, v120
	v_sub_f32_e32 v118, v187, v118
	v_dual_add_f32 v128, v146, v139 :: v_dual_add_f32 v139, v143, v145
	v_sub_f32_e32 v47, v183, v47
	s_delay_alu instid0(VALU_DEP_4) | instskip(SKIP_4) | instid1(VALU_DEP_4)
	v_add_f32_e32 v115, v116, v115
	v_sub_f32_e32 v113, v161, v113
	v_dual_sub_f32 v109, v192, v109 :: v_dual_add_f32 v58, v58, v184
	v_add_f32_e32 v127, v141, v139
	v_add_f32_e32 v56, v56, v191
	;; [unrolled: 1-line block ×3, first 2 shown]
	v_dual_add_f32 v131, v133, v132 :: v_dual_add_f32 v40, v40, v63
	s_delay_alu instid0(VALU_DEP_2) | instskip(NEXT) | instid1(VALU_DEP_2)
	v_add_f32_e32 v112, v112, v113
	v_dual_add_f32 v113, v118, v121 :: v_dual_add_f32 v40, v59, v40
	s_delay_alu instid0(VALU_DEP_3) | instskip(NEXT) | instid1(VALU_DEP_3)
	v_add_f32_e32 v129, v126, v131
	v_dual_add_f32 v111, v111, v112 :: v_dual_add_f32 v112, v41, v102
	s_delay_alu instid0(VALU_DEP_3) | instskip(NEXT) | instid1(VALU_DEP_2)
	v_add_f32_e32 v40, v57, v40
	v_add_f32_e32 v106, v110, v111
	s_delay_alu instid0(VALU_DEP_2) | instskip(NEXT) | instid1(VALU_DEP_1)
	v_dual_add_f32 v99, v112, v99 :: v_dual_add_f32 v40, v47, v40
	v_dual_add_f32 v98, v99, v98 :: v_dual_add_f32 v99, v105, v104
	v_add_f32_e32 v104, v107, v168
	v_add_f32_e32 v118, v117, v113
	s_delay_alu instid0(VALU_DEP_3) | instskip(NEXT) | instid1(VALU_DEP_1)
	v_dual_add_f32 v97, v98, v97 :: v_dual_add_f32 v98, v99, v103
	v_dual_add_f32 v63, v97, v96 :: v_dual_add_f32 v96, v98, v101
	;; [unrolled: 1-line block ×3, first 2 shown]
	s_delay_alu instid0(VALU_DEP_2) | instskip(NEXT) | instid1(VALU_DEP_3)
	v_add_f32_e32 v59, v63, v95
	v_add_f32_e32 v63, v96, v100
	s_delay_alu instid0(VALU_DEP_1) | instskip(NEXT) | instid1(VALU_DEP_1)
	v_add_f32_e32 v45, v63, v45
	v_dual_add_f32 v44, v45, v44 :: v_dual_sub_f32 v45, v158, v46
	v_mul_u32_u24_e32 v46, 0x1ce, v87
	s_delay_alu instid0(VALU_DEP_2) | instskip(NEXT) | instid1(VALU_DEP_3)
	v_dual_add_f32 v44, v44, v43 :: v_dual_add_f32 v41, v41, v108
	v_add_f32_e32 v40, v45, v40
	s_delay_alu instid0(VALU_DEP_3) | instskip(NEXT) | instid1(VALU_DEP_3)
	v_add_lshl_u32 v45, v46, v85, 3
	v_add_f32_e32 v42, v44, v42
	s_delay_alu instid0(VALU_DEP_4) | instskip(NEXT) | instid1(VALU_DEP_3)
	v_add_f32_e32 v41, v104, v41
	v_dual_add_f32 v57, v59, v94 :: v_dual_add_nc_u32 v46, 0x800, v45
	v_add_nc_u32_e32 v44, 0x400, v45
	s_delay_alu instid0(VALU_DEP_3) | instskip(NEXT) | instid1(VALU_DEP_3)
	v_add_f32_e32 v41, v62, v41
	v_add_f32_e32 v57, v57, v67
	s_delay_alu instid0(VALU_DEP_2) | instskip(NEXT) | instid1(VALU_DEP_2)
	v_add_f32_e32 v41, v58, v41
	v_add_f32_e32 v47, v57, v66
	s_delay_alu instid0(VALU_DEP_2) | instskip(NEXT) | instid1(VALU_DEP_2)
	v_add_f32_e32 v41, v56, v41
	v_add_f32_e32 v43, v47, v65
	ds_store_2addr_b64 v45, v[42:43], v[40:41] offset1:42
	ds_store_2addr_b64 v45, v[101:102], v[118:119] offset0:84 offset1:126
	ds_store_2addr_b64 v45, v[129:130], v[127:128] offset0:168 offset1:210
	;; [unrolled: 1-line block ×4, first 2 shown]
	ds_store_b64 v45, v[81:82] offset:3360
.LBB0_9:
	s_wait_alu 0xfffe
	s_or_b32 exec_lo, exec_lo, s1
	v_lshlrev_b32_e32 v40, 3, v64
	global_wb scope:SCOPE_SE
	s_wait_dscnt 0x0
	s_barrier_signal -1
	s_barrier_wait -1
	global_inv scope:SCOPE_SE
	s_clause 0x1
	global_load_b128 v[40:43], v40, s[10:11] offset:3680
	global_load_b128 v[44:47], v89, s[10:11] offset:3680
	v_add_nc_u32_e32 v104, 0xe00, v84
	v_add_nc_u32_e32 v105, 0x1c80, v84
	s_add_nc_u64 s[8:9], s[8:9], 0x2b50
	ds_load_2addr_b64 v[56:59], v104 offset0:14 offset1:245
	ds_load_2addr_b64 v[62:65], v105 offset0:12 offset1:243
	ds_load_2addr_b64 v[94:97], v84 offset1:231
	s_wait_loadcnt_dscnt 0x102
	v_mul_f32_e32 v66, v57, v41
	s_wait_loadcnt_dscnt 0x1
	v_dual_mul_f32 v100, v59, v45 :: v_dual_mul_f32 v103, v64, v47
	v_dual_mul_f32 v67, v56, v41 :: v_dual_mul_f32 v98, v63, v43
	v_mul_f32_e32 v101, v58, v45
	v_mul_f32_e32 v99, v62, v43
	v_mul_f32_e32 v102, v65, v47
	v_fma_f32 v58, v58, v44, -v100
	v_fma_f32 v56, v56, v40, -v66
	v_fmac_f32_e32 v67, v57, v40
	v_fma_f32 v57, v62, v42, -v98
	v_fmac_f32_e32 v99, v63, v42
	s_wait_dscnt 0x0
	v_add_f32_e32 v98, v96, v58
	v_fma_f32 v62, v64, v46, -v102
	v_fmac_f32_e32 v101, v59, v44
	v_dual_fmac_f32 v103, v65, v46 :: v_dual_add_f32 v64, v95, v67
	v_dual_add_f32 v59, v94, v56 :: v_dual_add_f32 v66, v67, v99
	s_delay_alu instid0(VALU_DEP_4) | instskip(NEXT) | instid1(VALU_DEP_3)
	v_dual_add_f32 v100, v58, v62 :: v_dual_add_f32 v63, v56, v57
	v_sub_f32_e32 v102, v101, v103
	v_dual_sub_f32 v65, v67, v99 :: v_dual_add_f32 v106, v97, v101
	v_add_f32_e32 v101, v101, v103
	v_sub_f32_e32 v67, v56, v57
	v_dual_sub_f32 v107, v58, v62 :: v_dual_add_f32 v56, v59, v57
	v_fma_f32 v58, -0.5, v63, v94
	v_fma_f32 v59, -0.5, v66, v95
	;; [unrolled: 1-line block ×3, first 2 shown]
	v_fmac_f32_e32 v97, -0.5, v101
	v_dual_add_f32 v57, v64, v99 :: v_dual_add_f32 v62, v98, v62
	v_fmamk_f32 v64, v65, 0x3f5db3d7, v58
	v_dual_fmac_f32 v58, 0xbf5db3d7, v65 :: v_dual_fmamk_f32 v65, v67, 0xbf5db3d7, v59
	v_fmac_f32_e32 v59, 0x3f5db3d7, v67
	v_add_f32_e32 v63, v106, v103
	v_fmamk_f32 v66, v102, 0x3f5db3d7, v96
	v_dual_fmac_f32 v96, 0xbf5db3d7, v102 :: v_dual_fmamk_f32 v67, v107, 0xbf5db3d7, v97
	v_fmac_f32_e32 v97, 0x3f5db3d7, v107
	ds_store_b64 v84, v[64:65] offset:3696
	ds_store_b64 v84, v[58:59] offset:7392
	ds_store_2addr_b64 v84, v[56:57], v[62:63] offset1:231
	ds_store_b64 v84, v[66:67] offset:5544
	ds_store_b64 v84, v[96:97] offset:9240
	global_wb scope:SCOPE_SE
	s_wait_dscnt 0x0
	s_barrier_signal -1
	s_barrier_wait -1
	global_inv scope:SCOPE_SE
	global_load_b64 v[60:61], v[60:61], off offset:11088
	v_lshlrev_b32_e32 v56, 3, v83
	s_clause 0x4
	global_load_b64 v[94:95], v56, s[8:9] offset:1848
	global_load_b64 v[96:97], v56, s[8:9] offset:5544
	;; [unrolled: 1-line block ×5, first 2 shown]
	ds_load_2addr_b64 v[56:59], v84 offset1:231
	s_wait_loadcnt_dscnt 0x500
	v_dual_mul_f32 v63, v57, v61 :: v_dual_add_nc_u32 v106, 0x1500, v84
	v_mul_f32_e32 v62, v56, v61
	s_delay_alu instid0(VALU_DEP_2) | instskip(SKIP_2) | instid1(VALU_DEP_3)
	v_fma_f32 v61, v56, v60, -v63
	s_wait_loadcnt 0x4
	v_mul_f32_e32 v56, v59, v95
	v_dual_fmac_f32 v62, v57, v60 :: v_dual_mul_f32 v57, v58, v95
	s_delay_alu instid0(VALU_DEP_2)
	v_fma_f32 v56, v58, v94, -v56
	ds_store_b64 v84, v[61:62]
	ds_load_2addr_b64 v[60:63], v104 offset0:14 offset1:245
	ds_load_2addr_b64 v[64:67], v105 offset0:12 offset1:243
	v_add_nc_u32_e32 v107, 0x700, v84
	v_fmac_f32_e32 v57, v59, v94
	s_wait_loadcnt_dscnt 0x301
	v_mul_f32_e32 v58, v63, v97
	s_wait_loadcnt_dscnt 0x200
	v_dual_mul_f32 v94, v65, v99 :: v_dual_mul_f32 v59, v62, v97
	s_wait_loadcnt 0x1
	v_dual_mul_f32 v95, v64, v99 :: v_dual_mul_f32 v108, v61, v101
	v_mul_f32_e32 v97, v60, v101
	s_wait_loadcnt 0x0
	v_mul_f32_e32 v101, v67, v103
	v_mul_f32_e32 v99, v66, v103
	v_fma_f32 v58, v62, v96, -v58
	v_fmac_f32_e32 v59, v63, v96
	v_fma_f32 v94, v64, v98, -v94
	v_fmac_f32_e32 v95, v65, v98
	;; [unrolled: 2-line block ×4, first 2 shown]
	ds_store_2addr_b64 v106, v[58:59], v[94:95] offset0:21 offset1:252
	ds_store_2addr_b64 v107, v[56:57], v[96:97] offset0:7 offset1:238
	ds_store_b64 v84, v[98:99] offset:9240
	global_wb scope:SCOPE_SE
	s_wait_dscnt 0x0
	s_barrier_signal -1
	s_barrier_wait -1
	global_inv scope:SCOPE_SE
	ds_load_2addr_b64 v[94:97], v84 offset1:231
	ds_load_2addr_b64 v[60:63], v104 offset0:14 offset1:245
	ds_load_2addr_b64 v[98:101], v105 offset0:12 offset1:243
	global_wb scope:SCOPE_SE
	s_wait_dscnt 0x0
	s_barrier_signal -1
	s_barrier_wait -1
	global_inv scope:SCOPE_SE
	v_sub_f32_e32 v58, v94, v62
	v_dual_sub_f32 v62, v60, v100 :: v_dual_sub_f32 v59, v95, v63
	v_dual_sub_f32 v66, v96, v98 :: v_dual_sub_f32 v67, v97, v99
	v_sub_f32_e32 v63, v61, v101
	s_delay_alu instid0(VALU_DEP_4) | instskip(NEXT) | instid1(VALU_DEP_4)
	v_fma_f32 v56, v94, 2.0, -v58
	v_fma_f32 v57, v95, 2.0, -v59
	s_delay_alu instid0(VALU_DEP_4)
	v_fma_f32 v64, v96, 2.0, -v66
	v_fma_f32 v65, v97, 2.0, -v67
	;; [unrolled: 1-line block ×4, first 2 shown]
	ds_store_b128 v90, v[56:59]
	ds_store_b128 v89, v[64:67]
	;; [unrolled: 1-line block ×3, first 2 shown]
	global_wb scope:SCOPE_SE
	s_wait_dscnt 0x0
	s_barrier_signal -1
	s_barrier_wait -1
	global_inv scope:SCOPE_SE
	s_and_saveexec_b32 s1, vcc_lo
	s_cbranch_execz .LBB0_11
; %bb.10:
	v_add_nc_u32_e32 v48, 0xc00, v84
	v_add_nc_u32_e32 v49, 0x1800, v84
	ds_load_2addr_b64 v[56:59], v84 offset1:198
	ds_load_2addr_b64 v[64:67], v48 offset0:12 offset1:210
	ds_load_2addr_b64 v[60:63], v49 offset0:24 offset1:222
	ds_load_b64 v[48:49], v84 offset:9504
.LBB0_11:
	s_wait_alu 0xfffe
	s_or_b32 exec_lo, exec_lo, s1
	s_wait_dscnt 0x2
	v_dual_mul_f32 v89, v9, v59 :: v_dual_mul_f32 v90, v11, v65
	v_mul_f32_e32 v9, v9, v58
	v_mul_f32_e32 v11, v11, v64
	global_wb scope:SCOPE_SE
	s_wait_dscnt 0x0
	v_dual_fmac_f32 v89, v8, v58 :: v_dual_mul_f32 v58, v5, v67
	v_fmac_f32_e32 v90, v10, v64
	v_mul_f32_e32 v64, v1, v63
	v_fma_f32 v8, v8, v59, -v9
	s_delay_alu instid0(VALU_DEP_4) | instskip(NEXT) | instid1(VALU_DEP_3)
	v_dual_mul_f32 v59, v7, v61 :: v_dual_fmac_f32 v58, v4, v66
	v_dual_mul_f32 v7, v7, v60 :: v_dual_fmac_f32 v64, v0, v62
	v_mul_f32_e32 v5, v5, v66
	s_delay_alu instid0(VALU_DEP_3) | instskip(SKIP_1) | instid1(VALU_DEP_4)
	v_fmac_f32_e32 v59, v6, v60
	v_fma_f32 v9, v10, v65, -v11
	v_fma_f32 v6, v6, v61, -v7
	v_dual_mul_f32 v1, v1, v62 :: v_dual_sub_f32 v62, v90, v64
	v_fma_f32 v4, v4, v67, -v5
	v_dual_mul_f32 v5, v3, v49 :: v_dual_add_f32 v10, v64, v90
	s_delay_alu instid0(VALU_DEP_3) | instskip(SKIP_1) | instid1(VALU_DEP_3)
	v_fma_f32 v0, v0, v63, -v1
	s_barrier_signal -1
	v_add_f32_e32 v1, v6, v4
	s_delay_alu instid0(VALU_DEP_3) | instskip(NEXT) | instid1(VALU_DEP_3)
	v_fmac_f32_e32 v5, v2, v48
	v_dual_sub_f32 v4, v6, v4 :: v_dual_add_f32 v61, v0, v9
	v_dual_sub_f32 v9, v9, v0 :: v_dual_add_f32 v0, v59, v58
	s_delay_alu instid0(VALU_DEP_3) | instskip(SKIP_2) | instid1(VALU_DEP_3)
	v_dual_mul_f32 v3, v3, v48 :: v_dual_sub_f32 v60, v89, v5
	v_add_f32_e32 v7, v5, v89
	s_barrier_wait -1
	v_sub_f32_e32 v64, v0, v10
	s_delay_alu instid0(VALU_DEP_3)
	v_fma_f32 v2, v2, v49, -v3
	global_inv scope:SCOPE_SE
	v_add_f32_e32 v11, v2, v8
	v_sub_f32_e32 v3, v8, v2
	v_sub_f32_e32 v2, v59, v58
	v_dual_sub_f32 v8, v7, v0 :: v_dual_add_f32 v5, v10, v7
	s_delay_alu instid0(VALU_DEP_2) | instskip(SKIP_4) | instid1(VALU_DEP_4)
	v_sub_f32_e32 v58, v2, v62
	v_dual_add_f32 v6, v61, v11 :: v_dual_add_f32 v49, v2, v62
	v_sub_f32_e32 v2, v60, v2
	v_sub_f32_e32 v48, v11, v1
	;; [unrolled: 1-line block ×3, first 2 shown]
	v_add_f32_e32 v93, v1, v6
	s_delay_alu instid0(VALU_DEP_4) | instskip(NEXT) | instid1(VALU_DEP_4)
	v_dual_add_f32 v65, v4, v9 :: v_dual_mul_f32 v90, 0xbeae86e6, v2
	v_mul_f32_e32 v89, 0x3f4a47b2, v48
	s_delay_alu instid0(VALU_DEP_3) | instskip(SKIP_2) | instid1(VALU_DEP_1)
	v_add_f32_e32 v1, v57, v93
	v_dual_sub_f32 v59, v4, v9 :: v_dual_sub_f32 v4, v3, v4
	v_add_f32_e32 v5, v0, v5
	v_dual_mul_f32 v57, 0xbeae86e6, v4 :: v_dual_add_f32 v0, v56, v5
	s_delay_alu instid0(VALU_DEP_4) | instskip(NEXT) | instid1(VALU_DEP_2)
	v_fmamk_f32 v56, v93, 0xbf955555, v1
	v_fmamk_f32 v2, v59, 0x3f08b237, v57
	s_delay_alu instid0(VALU_DEP_3) | instskip(SKIP_1) | instid1(VALU_DEP_1)
	v_fmamk_f32 v6, v5, 0xbf955555, v0
	v_dual_add_f32 v66, v65, v3 :: v_dual_mul_f32 v65, 0x3f4a47b2, v8
	v_dual_add_f32 v67, v49, v60 :: v_dual_fmamk_f32 v4, v64, 0x3d64c772, v65
	s_delay_alu instid0(VALU_DEP_2) | instskip(NEXT) | instid1(VALU_DEP_2)
	v_fmac_f32_e32 v2, 0xbee1c552, v66
	v_add_f32_e32 v4, v4, v6
	s_delay_alu instid0(VALU_DEP_1) | instskip(SKIP_1) | instid1(VALU_DEP_1)
	v_sub_f32_e32 v48, v4, v2
	v_fmamk_f32 v8, v63, 0x3d64c772, v89
	v_dual_fmamk_f32 v5, v58, 0x3f08b237, v90 :: v_dual_add_f32 v8, v8, v56
	s_delay_alu instid0(VALU_DEP_1) | instskip(NEXT) | instid1(VALU_DEP_1)
	v_fmac_f32_e32 v5, 0xbee1c552, v67
	v_add_f32_e32 v49, v5, v8
	s_and_saveexec_b32 s1, vcc_lo
	s_cbranch_execz .LBB0_13
; %bb.12:
	v_dual_sub_f32 v60, v62, v60 :: v_dual_sub_f32 v11, v61, v11
	v_dual_mul_f32 v61, 0x3d64c772, v64 :: v_dual_sub_f32 v10, v10, v7
	v_mul_f32_e32 v62, 0xbee1c552, v67
	s_delay_alu instid0(VALU_DEP_3) | instskip(NEXT) | instid1(VALU_DEP_4)
	v_fma_f32 v64, 0x3f5ff5aa, v60, -v90
	v_fma_f32 v67, 0xbf3bfb3b, v11, -v89
	v_dual_mul_f32 v66, 0xbee1c552, v66 :: v_dual_sub_f32 v3, v9, v3
	v_fma_f32 v9, 0xbf3bfb3b, v10, -v65
	v_dual_mul_f32 v58, 0x3f08b237, v58 :: v_dual_mul_f32 v59, 0x3f08b237, v59
	s_delay_alu instid0(VALU_DEP_4) | instskip(SKIP_4) | instid1(VALU_DEP_4)
	v_add_f32_e32 v67, v67, v56
	v_dual_mul_f32 v63, 0x3d64c772, v63 :: v_dual_add_f32 v64, v62, v64
	v_fma_f32 v57, 0x3f5ff5aa, v3, -v57
	v_add_f32_e32 v65, v9, v6
	v_fma_f32 v3, 0xbf5ff5aa, v3, -v59
	v_fma_f32 v9, 0x3f3bfb3b, v11, -v63
	;; [unrolled: 1-line block ×3, first 2 shown]
	v_dual_add_f32 v7, v64, v67 :: v_dual_add_f32 v58, v66, v57
	v_fma_f32 v10, 0x3f3bfb3b, v10, -v61
	s_delay_alu instid0(VALU_DEP_4) | instskip(NEXT) | instid1(VALU_DEP_4)
	v_add_f32_e32 v9, v9, v56
	v_add_f32_e32 v11, v62, v11
	v_mul_u32_u24_e32 v56, 14, v88
	v_add_f32_e32 v59, v66, v3
	v_dual_add_f32 v60, v10, v6 :: v_dual_sub_f32 v5, v8, v5
	s_delay_alu instid0(VALU_DEP_4)
	v_add_f32_e32 v10, v11, v9
	v_sub_f32_e32 v6, v65, v58
	v_dual_sub_f32 v3, v9, v11 :: v_dual_add_f32 v4, v2, v4
	v_or_b32_e32 v11, v56, v86
	v_sub_f32_e32 v57, v67, v64
	v_dual_sub_f32 v9, v60, v59 :: v_dual_add_f32 v56, v58, v65
	v_add_f32_e32 v2, v59, v60
	s_delay_alu instid0(VALU_DEP_4)
	v_lshlrev_b32_e32 v8, 3, v11
	ds_store_2addr_b64 v8, v[0:1], v[4:5] offset1:2
	ds_store_2addr_b64 v8, v[56:57], v[9:10] offset0:4 offset1:6
	ds_store_2addr_b64 v8, v[2:3], v[6:7] offset0:8 offset1:10
	ds_store_b64 v8, v[48:49] offset:96
.LBB0_13:
	s_wait_alu 0xfffe
	s_or_b32 exec_lo, exec_lo, s1
	v_add_nc_u32_e32 v0, 0xe00, v84
	v_add_nc_u32_e32 v4, 0x1c80, v84
	global_wb scope:SCOPE_SE
	s_wait_dscnt 0x0
	s_barrier_signal -1
	s_barrier_wait -1
	global_inv scope:SCOPE_SE
	ds_load_2addr_b64 v[0:3], v0 offset0:14 offset1:245
	ds_load_2addr_b64 v[8:11], v4 offset0:12 offset1:243
	ds_load_2addr_b64 v[4:7], v84 offset1:231
	global_wb scope:SCOPE_SE
	s_wait_dscnt 0x0
	s_barrier_signal -1
	s_barrier_wait -1
	global_inv scope:SCOPE_SE
	v_mul_f32_e32 v56, v25, v1
	v_mul_f32_e32 v57, v27, v9
	v_dual_mul_f32 v27, v27, v8 :: v_dual_mul_f32 v58, v29, v3
	v_mul_f32_e32 v29, v29, v2
	s_delay_alu instid0(VALU_DEP_4) | instskip(SKIP_1) | instid1(VALU_DEP_4)
	v_dual_mul_f32 v59, v31, v11 :: v_dual_fmac_f32 v56, v24, v0
	v_mul_f32_e32 v31, v31, v10
	v_dual_mul_f32 v25, v25, v0 :: v_dual_fmac_f32 v58, v28, v2
	s_delay_alu instid0(VALU_DEP_4) | instskip(NEXT) | instid1(VALU_DEP_4)
	v_fma_f32 v2, v28, v3, -v29
	v_add_f32_e32 v3, v4, v56
	s_delay_alu instid0(VALU_DEP_4) | instskip(NEXT) | instid1(VALU_DEP_4)
	v_fma_f32 v11, v30, v11, -v31
	v_fma_f32 v0, v24, v1, -v25
	;; [unrolled: 1-line block ×3, first 2 shown]
	v_fmac_f32_e32 v57, v26, v8
	v_fmac_f32_e32 v59, v30, v10
	s_delay_alu instid0(VALU_DEP_4) | instskip(NEXT) | instid1(VALU_DEP_4)
	v_dual_add_f32 v26, v6, v58 :: v_dual_add_f32 v9, v5, v0
	v_add_f32_e32 v24, v0, v1
	v_sub_f32_e32 v10, v0, v1
	v_add_f32_e32 v8, v56, v57
	v_dual_sub_f32 v25, v56, v57 :: v_dual_sub_f32 v28, v2, v11
	v_dual_add_f32 v27, v58, v59 :: v_dual_add_f32 v0, v3, v57
	v_dual_add_f32 v29, v7, v2 :: v_dual_add_f32 v2, v2, v11
	s_delay_alu instid0(VALU_DEP_4)
	v_fma_f32 v8, -0.5, v8, v4
	v_add_f32_e32 v1, v9, v1
	v_fma_f32 v9, -0.5, v24, v5
	v_fma_f32 v6, -0.5, v27, v6
	v_dual_fmac_f32 v7, -0.5, v2 :: v_dual_sub_f32 v24, v58, v59
	v_fmamk_f32 v2, v10, 0xbf5db3d7, v8
	s_delay_alu instid0(VALU_DEP_4)
	v_dual_fmac_f32 v8, 0x3f5db3d7, v10 :: v_dual_fmamk_f32 v3, v25, 0x3f5db3d7, v9
	v_dual_fmac_f32 v9, 0xbf5db3d7, v25 :: v_dual_add_f32 v10, v26, v59
	v_dual_fmamk_f32 v4, v28, 0xbf5db3d7, v6 :: v_dual_add_f32 v11, v29, v11
	v_dual_fmac_f32 v6, 0x3f5db3d7, v28 :: v_dual_fmamk_f32 v5, v24, 0x3f5db3d7, v7
	v_fmac_f32_e32 v7, 0xbf5db3d7, v24
	ds_store_2addr_b64 v92, v[0:1], v[2:3] offset1:14
	ds_store_b64 v92, v[8:9] offset:224
	ds_store_2addr_b64 v91, v[10:11], v[4:5] offset1:14
	ds_store_b64 v91, v[6:7] offset:224
	global_wb scope:SCOPE_SE
	s_wait_dscnt 0x0
	s_barrier_signal -1
	s_barrier_wait -1
	global_inv scope:SCOPE_SE
	s_and_saveexec_b32 s1, s0
	s_cbranch_execz .LBB0_15
; %bb.14:
	v_add_nc_u32_e32 v4, 0x400, v84
	v_add_nc_u32_e32 v5, 0xc00, v84
	;; [unrolled: 1-line block ×4, first 2 shown]
	ds_load_2addr_b64 v[0:3], v84 offset1:126
	ds_load_2addr_b64 v[8:11], v4 offset0:124 offset1:250
	ds_load_2addr_b64 v[4:7], v5 offset0:120 offset1:246
	;; [unrolled: 1-line block ×4, first 2 shown]
	ds_load_b64 v[81:82], v84 offset:10080
.LBB0_15:
	s_wait_alu 0xfffe
	s_or_b32 exec_lo, exec_lo, s1
	global_wb scope:SCOPE_SE
	s_wait_dscnt 0x0
	s_barrier_signal -1
	s_barrier_wait -1
	global_inv scope:SCOPE_SE
	s_and_saveexec_b32 s1, s0
	s_cbranch_execz .LBB0_17
; %bb.16:
	v_dual_mul_f32 v24, v39, v81 :: v_dual_mul_f32 v25, v33, v2
	v_dual_mul_f32 v26, v33, v3 :: v_dual_mul_f32 v27, v39, v82
	v_mul_f32_e32 v28, v35, v8
	s_delay_alu instid0(VALU_DEP_3) | instskip(NEXT) | instid1(VALU_DEP_4)
	v_fma_f32 v24, v38, v82, -v24
	v_fma_f32 v25, v32, v3, -v25
	v_mul_f32_e32 v3, v37, v54
	v_dual_fmac_f32 v26, v32, v2 :: v_dual_fmac_f32 v27, v38, v81
	v_fma_f32 v28, v34, v9, -v28
	s_delay_alu instid0(VALU_DEP_4) | instskip(NEXT) | instid1(VALU_DEP_4)
	v_dual_add_f32 v29, v24, v25 :: v_dual_mul_f32 v32, v37, v55
	v_fma_f32 v30, v36, v55, -v3
	v_mul_f32_e32 v31, v35, v9
	s_delay_alu instid0(VALU_DEP_3) | instskip(NEXT) | instid1(VALU_DEP_3)
	v_dual_mul_f32 v91, 0xbe11bafb, v29 :: v_dual_fmac_f32 v32, v36, v54
	v_dual_add_f32 v9, v30, v28 :: v_dual_mul_f32 v36, v21, v10
	s_delay_alu instid0(VALU_DEP_3) | instskip(SKIP_1) | instid1(VALU_DEP_3)
	v_fmac_f32_e32 v31, v34, v8
	v_dual_mul_f32 v8, v19, v52 :: v_dual_sub_f32 v35, v26, v27
	v_mul_f32_e32 v34, 0x3f575c64, v9
	s_delay_alu instid0(VALU_DEP_4) | instskip(SKIP_1) | instid1(VALU_DEP_4)
	v_fma_f32 v36, v20, v11, -v36
	v_mul_f32_e32 v11, v21, v11
	v_fma_f32 v38, v18, v53, -v8
	v_dual_mul_f32 v19, v19, v53 :: v_dual_mul_f32 v8, v17, v50
	v_dual_mul_f32 v33, 0xbf75a155, v29 :: v_dual_sub_f32 v2, v31, v32
	v_mul_f32_e32 v21, v23, v4
	v_fmac_f32_e32 v11, v20, v10
	s_delay_alu instid0(VALU_DEP_4)
	v_dual_fmac_f32 v19, v18, v52 :: v_dual_sub_f32 v56, v28, v30
	v_fma_f32 v18, v16, v51, -v8
	v_mul_f32_e32 v17, v17, v51
	v_mul_f32_e32 v8, v13, v6
	v_fma_f32 v20, v22, v5, -v21
	v_fmamk_f32 v3, v35, 0x3e903f40, v33
	v_mul_f32_e32 v21, v23, v5
	v_dual_mul_f32 v5, v15, v48 :: v_dual_mul_f32 v62, 0xbf27a4f4, v29
	v_mul_f32_e32 v13, v13, v7
	v_dual_mul_f32 v15, v15, v49 :: v_dual_add_f32 v52, v18, v20
	v_add_f32_e32 v3, v1, v3
	v_fma_f32 v53, v12, v7, -v8
	s_delay_alu instid0(VALU_DEP_4) | instskip(NEXT) | instid1(VALU_DEP_4)
	v_fmac_f32_e32 v13, v12, v6
	v_dual_fmac_f32 v15, v14, v48 :: v_dual_add_f32 v48, v32, v31
	v_sub_f32_e32 v12, v36, v38
	v_dual_fmac_f32 v17, v16, v50 :: v_dual_sub_f32 v50, v25, v24
	v_add_f32_e32 v39, v38, v36
	v_fmac_f32_e32 v21, v22, v4
	v_fmamk_f32 v37, v2, 0xbf0a6770, v34
	v_mul_f32_e32 v61, 0xbf4178ce, v12
	v_mul_f32_e32 v54, 0xbe903f40, v50
	s_delay_alu instid0(VALU_DEP_4)
	v_dual_mul_f32 v23, 0xbf27a4f4, v39 :: v_dual_sub_f32 v22, v21, v17
	v_mul_f32_e32 v63, 0xbe11bafb, v9
	v_mul_f32_e32 v67, 0x3f575c64, v39
	;; [unrolled: 1-line block ×3, first 2 shown]
	v_dual_sub_f32 v51, v11, v19 :: v_dual_mul_f32 v86, 0xbf75a155, v52
	v_sub_f32_e32 v59, v13, v15
	v_add_f32_e32 v3, v37, v3
	v_fma_f32 v37, v14, v49, -v5
	v_add_f32_e32 v49, v27, v26
	v_mul_f32_e32 v97, 0x3f575c64, v52
	v_mul_f32_e32 v16, 0x3ed4b147, v52
	v_fmamk_f32 v6, v48, 0x3f575c64, v57
	v_dual_fmamk_f32 v4, v51, 0x3f4178ce, v23 :: v_dual_add_f32 v55, v37, v53
	s_delay_alu instid0(VALU_DEP_4) | instskip(SKIP_2) | instid1(VALU_DEP_4)
	v_dual_sub_f32 v66, v53, v37 :: v_dual_fmamk_f32 v99, v22, 0x3f0a6770, v97
	v_fmamk_f32 v5, v49, 0xbf75a155, v54
	v_mul_f32_e32 v88, 0xbf4178ce, v50
	v_mul_f32_e32 v58, 0xbe11bafb, v55
	v_dual_add_f32 v3, v4, v3 :: v_dual_add_f32 v64, v17, v21
	s_delay_alu instid0(VALU_DEP_4) | instskip(SKIP_2) | instid1(VALU_DEP_3)
	v_dual_fmamk_f32 v4, v22, 0xbf68dda4, v16 :: v_dual_add_f32 v5, v0, v5
	v_dual_add_f32 v60, v19, v11 :: v_dual_mul_f32 v109, 0xbe11bafb, v52
	v_add_f32_e32 v26, v0, v26
	v_dual_add_f32 v3, v4, v3 :: v_dual_fmamk_f32 v4, v59, 0x3f7d64f0, v58
	s_delay_alu instid0(VALU_DEP_4) | instskip(NEXT) | instid1(VALU_DEP_4)
	v_dual_add_f32 v5, v6, v5 :: v_dual_mul_f32 v90, 0x3f7d64f0, v56
	v_fmamk_f32 v6, v60, 0xbf27a4f4, v61
	s_delay_alu instid0(VALU_DEP_4) | instskip(NEXT) | instid1(VALU_DEP_4)
	v_dual_mul_f32 v115, 0x3ed4b147, v9 :: v_dual_add_f32 v26, v31, v26
	v_dual_add_f32 v4, v4, v3 :: v_dual_mul_f32 v103, 0x3f68dda4, v12
	v_sub_f32_e32 v14, v20, v18
	s_delay_alu instid0(VALU_DEP_3)
	v_fmamk_f32 v116, v2, 0x3f68dda4, v115
	v_mul_f32_e32 v89, 0x3ed4b147, v55
	v_add_f32_e32 v3, v6, v5
	v_fmamk_f32 v5, v35, 0x3f4178ce, v62
	v_fmamk_f32 v8, v48, 0xbe11bafb, v90
	;; [unrolled: 1-line block ×3, first 2 shown]
	v_dual_mul_f32 v82, 0xbf7d64f0, v66 :: v_dual_add_f32 v81, v15, v13
	s_delay_alu instid0(VALU_DEP_4)
	v_dual_mul_f32 v94, 0xbe903f40, v14 :: v_dual_add_f32 v5, v1, v5
	v_mul_f32_e32 v92, 0xbf0a6770, v12
	v_mul_f32_e32 v96, 0x3f68dda4, v66
	;; [unrolled: 1-line block ×4, first 2 shown]
	v_dual_add_f32 v5, v6, v5 :: v_dual_fmamk_f32 v6, v51, 0x3f0a6770, v67
	v_mul_f32_e32 v93, 0xbf75a155, v9
	v_mul_f32_e32 v117, 0x3f0a6770, v66
	v_mul_f32_e32 v111, 0x3f575c64, v55
	v_mul_f32_e32 v105, 0xbf0a6770, v14
	v_add_f32_e32 v5, v6, v5
	v_fmamk_f32 v6, v22, 0x3e903f40, v86
	v_fmamk_f32 v10, v2, 0xbe903f40, v93
	v_mul_f32_e32 v104, 0xbf27a4f4, v9
	v_mul_f32_e32 v98, 0xbf7d64f0, v50
	;; [unrolled: 1-line block ×3, first 2 shown]
	v_dual_add_f32 v5, v6, v5 :: v_dual_fmamk_f32 v6, v59, 0xbf68dda4, v89
	s_delay_alu instid0(VALU_DEP_4)
	v_fmamk_f32 v106, v2, 0x3f4178ce, v104
	v_mul_f32_e32 v100, 0xbf27a4f4, v55
	v_mul_f32_e32 v108, 0xbf4178ce, v66
	;; [unrolled: 1-line block ×3, first 2 shown]
	v_dual_add_f32 v6, v6, v5 :: v_dual_fmamk_f32 v5, v35, 0x3f7d64f0, v91
	v_mul_f32_e32 v107, 0xbf75a155, v39
	v_mul_f32_e32 v39, 0xbe11bafb, v39
	v_fmac_f32_e32 v63, 0x3f7d64f0, v2
	v_fmac_f32_e32 v115, 0xbf68dda4, v2
	v_add_f32_e32 v5, v1, v5
	v_dual_add_f32 v25, v25, v1 :: v_dual_mul_f32 v112, 0xbf4178ce, v56
	v_mul_f32_e32 v52, 0xbf27a4f4, v52
	s_delay_alu instid0(VALU_DEP_3) | instskip(SKIP_4) | instid1(VALU_DEP_3)
	v_dual_fmac_f32 v34, 0x3f0a6770, v2 :: v_dual_add_f32 v5, v10, v5
	v_fmamk_f32 v10, v51, 0xbf68dda4, v95
	v_mul_f32_e32 v65, 0x3f68dda4, v14
	v_fmamk_f32 v113, v48, 0xbf27a4f4, v112
	v_dual_add_f32 v25, v28, v25 :: v_dual_fmac_f32 v86, 0xbe903f40, v22
	v_dual_add_f32 v10, v10, v5 :: v_dual_fmamk_f32 v7, v64, 0x3ed4b147, v65
	s_delay_alu instid0(VALU_DEP_2) | instskip(SKIP_1) | instid1(VALU_DEP_3)
	v_dual_fmac_f32 v62, 0xbf4178ce, v35 :: v_dual_add_f32 v25, v36, v25
	v_dual_mul_f32 v36, 0xbf68dda4, v56 :: v_dual_add_f32 v11, v11, v26
	v_add_f32_e32 v3, v7, v3
	s_delay_alu instid0(VALU_DEP_3) | instskip(NEXT) | instid1(VALU_DEP_3)
	v_dual_fmamk_f32 v7, v81, 0xbe11bafb, v82 :: v_dual_add_f32 v20, v20, v25
	v_dual_fmamk_f32 v26, v48, 0x3ed4b147, v36 :: v_dual_add_f32 v11, v21, v11
	s_delay_alu instid0(VALU_DEP_2) | instskip(SKIP_2) | instid1(VALU_DEP_4)
	v_dual_fmac_f32 v16, 0x3f68dda4, v22 :: v_dual_add_f32 v3, v7, v3
	v_fmamk_f32 v7, v49, 0xbf27a4f4, v88
	v_fmac_f32_e32 v58, 0xbf7d64f0, v59
	v_add_f32_e32 v11, v13, v11
	s_delay_alu instid0(VALU_DEP_3) | instskip(NEXT) | instid1(VALU_DEP_2)
	v_add_f32_e32 v7, v0, v7
	v_add_f32_e32 v11, v15, v11
	s_delay_alu instid0(VALU_DEP_2) | instskip(NEXT) | instid1(VALU_DEP_2)
	v_add_f32_e32 v7, v8, v7
	v_dual_fmamk_f32 v8, v60, 0x3f575c64, v92 :: v_dual_add_f32 v11, v17, v11
	v_fmac_f32_e32 v67, 0xbf0a6770, v51
	s_delay_alu instid0(VALU_DEP_2) | instskip(SKIP_1) | instid1(VALU_DEP_1)
	v_add_f32_e32 v7, v8, v7
	v_fmamk_f32 v8, v64, 0xbf75a155, v94
	v_dual_add_f32 v7, v8, v7 :: v_dual_fmamk_f32 v8, v81, 0x3ed4b147, v96
	s_delay_alu instid0(VALU_DEP_1) | instskip(SKIP_4) | instid1(VALU_DEP_4)
	v_dual_add_f32 v5, v8, v7 :: v_dual_add_f32 v8, v99, v10
	v_fmamk_f32 v10, v59, 0x3f4178ce, v100
	v_mul_f32_e32 v99, 0x3ed4b147, v29
	v_mul_f32_e32 v29, 0x3f575c64, v29
	v_fmac_f32_e32 v100, 0xbf4178ce, v59
	v_add_f32_e32 v8, v10, v8
	s_delay_alu instid0(VALU_DEP_4) | instskip(NEXT) | instid1(VALU_DEP_1)
	v_fmamk_f32 v10, v35, 0x3f68dda4, v99
	v_add_f32_e32 v10, v1, v10
	s_delay_alu instid0(VALU_DEP_1) | instskip(SKIP_1) | instid1(VALU_DEP_1)
	v_add_f32_e32 v10, v106, v10
	v_fmamk_f32 v106, v51, 0xbe903f40, v107
	v_add_f32_e32 v10, v106, v10
	v_fmamk_f32 v106, v22, 0xbf7d64f0, v109
	v_fmac_f32_e32 v109, 0x3f7d64f0, v22
	s_delay_alu instid0(VALU_DEP_2) | instskip(SKIP_3) | instid1(VALU_DEP_3)
	v_add_f32_e32 v10, v106, v10
	v_fmamk_f32 v106, v59, 0xbf0a6770, v111
	v_fmamk_f32 v7, v49, 0xbe11bafb, v98
	v_fmac_f32_e32 v93, 0x3e903f40, v2
	v_add_f32_e32 v10, v106, v10
	s_delay_alu instid0(VALU_DEP_3) | instskip(NEXT) | instid1(VALU_DEP_1)
	v_dual_fmamk_f32 v106, v35, 0x3f0a6770, v29 :: v_dual_add_f32 v7, v0, v7
	v_add_f32_e32 v106, v1, v106
	s_delay_alu instid0(VALU_DEP_1) | instskip(SKIP_1) | instid1(VALU_DEP_1)
	v_add_f32_e32 v106, v116, v106
	v_fmamk_f32 v102, v48, 0xbf75a155, v101
	v_dual_fmamk_f32 v116, v51, 0x3f7d64f0, v39 :: v_dual_add_f32 v7, v102, v7
	v_fmamk_f32 v102, v60, 0x3ed4b147, v103
	s_delay_alu instid0(VALU_DEP_2)
	v_add_f32_e32 v106, v116, v106
	v_fmamk_f32 v116, v22, 0x3f4178ce, v52
	v_fmac_f32_e32 v89, 0x3f68dda4, v59
	v_fmac_f32_e32 v33, 0xbe903f40, v35
	v_dual_add_f32 v7, v102, v7 :: v_dual_fmamk_f32 v102, v64, 0x3f575c64, v105
	v_dual_fmac_f32 v23, 0xbf4178ce, v51 :: v_dual_fmac_f32 v104, 0xbf4178ce, v2
	s_delay_alu instid0(VALU_DEP_3) | instskip(SKIP_1) | instid1(VALU_DEP_4)
	v_add_f32_e32 v17, v1, v33
	v_fmac_f32_e32 v99, 0xbf68dda4, v35
	v_dual_add_f32 v7, v102, v7 :: v_dual_fmamk_f32 v102, v81, 0xbf27a4f4, v108
	v_fma_f32 v2, 0x3ed4b147, v48, -v36
	s_delay_alu instid0(VALU_DEP_2) | instskip(SKIP_1) | instid1(VALU_DEP_1)
	v_dual_fmac_f32 v52, 0xbf4178ce, v22 :: v_dual_add_f32 v7, v102, v7
	v_fmamk_f32 v102, v49, 0x3ed4b147, v110
	v_dual_fmac_f32 v95, 0x3f68dda4, v51 :: v_dual_add_f32 v102, v0, v102
	v_fmac_f32_e32 v97, 0xbf0a6770, v22
	s_delay_alu instid0(VALU_DEP_2) | instskip(SKIP_2) | instid1(VALU_DEP_2)
	v_dual_add_f32 v9, v113, v102 :: v_dual_fmamk_f32 v102, v60, 0xbf75a155, v114
	v_mul_f32_e32 v113, 0x3f7d64f0, v14
	v_fmac_f32_e32 v107, 0x3e903f40, v51
	v_dual_add_f32 v9, v102, v9 :: v_dual_fmamk_f32 v102, v64, 0xbe11bafb, v113
	s_delay_alu instid0(VALU_DEP_1) | instskip(SKIP_1) | instid1(VALU_DEP_2)
	v_dual_add_f32 v9, v102, v9 :: v_dual_mul_f32 v28, 0xbf0a6770, v50
	v_dual_add_f32 v50, v116, v106 :: v_dual_fmac_f32 v29, 0xbf0a6770, v35
	v_fmamk_f32 v31, v49, 0x3f575c64, v28
	s_delay_alu instid0(VALU_DEP_1) | instskip(SKIP_2) | instid1(VALU_DEP_1)
	v_add_f32_e32 v25, v0, v31
	v_mul_f32_e32 v31, 0xbf7d64f0, v12
	v_dual_add_f32 v12, v53, v20 :: v_dual_fmac_f32 v39, 0xbf7d64f0, v51
	v_dual_add_f32 v21, v26, v25 :: v_dual_add_f32 v26, v37, v12
	v_mul_f32_e32 v55, 0xbf75a155, v55
	v_mul_f32_e32 v37, 0xbf4178ce, v14
	v_fma_f32 v22, 0x3f575c64, v81, -v117
	s_delay_alu instid0(VALU_DEP_4) | instskip(SKIP_3) | instid1(VALU_DEP_4)
	v_dual_fmac_f32 v91, 0xbf7d64f0, v35 :: v_dual_add_f32 v14, v18, v26
	v_add_f32_e32 v18, v19, v11
	v_fmamk_f32 v20, v59, 0x3e903f40, v55
	v_fma_f32 v19, 0x3f575c64, v48, -v57
	v_dual_fmac_f32 v55, 0xbe903f40, v59 :: v_dual_add_f32 v14, v38, v14
	v_fmamk_f32 v25, v60, 0xbe11bafb, v31
	s_delay_alu instid0(VALU_DEP_4) | instskip(SKIP_2) | instid1(VALU_DEP_4)
	v_add_f32_e32 v12, v20, v50
	v_fma_f32 v20, 0xbe11bafb, v48, -v90
	v_add_f32_e32 v17, v34, v17
	v_dual_add_f32 v14, v30, v14 :: v_dual_add_f32 v13, v25, v21
	v_fma_f32 v25, 0xbf75a155, v48, -v101
	v_fmamk_f32 v15, v64, 0xbf27a4f4, v37
	v_mul_f32_e32 v21, 0xbe903f40, v66
	v_add_f32_e32 v17, v23, v17
	v_fma_f32 v23, 0x3f575c64, v60, -v92
	s_delay_alu instid0(VALU_DEP_4) | instskip(NEXT) | instid1(VALU_DEP_4)
	v_dual_add_f32 v14, v24, v14 :: v_dual_add_f32 v13, v15, v13
	v_fmamk_f32 v15, v81, 0xbf75a155, v21
	v_fmamk_f32 v102, v81, 0x3f575c64, v117
	v_fmac_f32_e32 v111, 0x3f0a6770, v59
	s_delay_alu instid0(VALU_DEP_3) | instskip(SKIP_3) | instid1(VALU_DEP_2)
	v_add_f32_e32 v11, v15, v13
	v_fma_f32 v13, 0xbf75a155, v49, -v54
	v_add_f32_e32 v15, v32, v18
	v_add_f32_e32 v9, v102, v9
	v_dual_add_f32 v18, v0, v13 :: v_dual_add_f32 v13, v27, v15
	v_add_f32_e32 v15, v16, v17
	v_fma_f32 v27, 0xbf27a4f4, v48, -v112
	s_delay_alu instid0(VALU_DEP_3) | instskip(SKIP_1) | instid1(VALU_DEP_4)
	v_add_f32_e32 v17, v19, v18
	v_fma_f32 v18, 0xbf27a4f4, v60, -v61
	v_dual_add_f32 v19, v1, v62 :: v_dual_add_f32 v16, v58, v15
	v_fma_f32 v15, 0xbf27a4f4, v49, -v88
	v_fma_f32 v21, 0xbf75a155, v81, -v21
	s_delay_alu instid0(VALU_DEP_4) | instskip(SKIP_3) | instid1(VALU_DEP_3)
	v_add_f32_e32 v17, v18, v17
	v_fma_f32 v18, 0x3ed4b147, v64, -v65
	v_add_f32_e32 v19, v63, v19
	v_add_f32_e32 v15, v0, v15
	;; [unrolled: 1-line block ×3, first 2 shown]
	v_fma_f32 v18, 0xbe11bafb, v81, -v82
	s_delay_alu instid0(VALU_DEP_4) | instskip(NEXT) | instid1(VALU_DEP_2)
	v_add_f32_e32 v19, v67, v19
	v_dual_add_f32 v20, v20, v15 :: v_dual_add_f32 v15, v18, v17
	s_delay_alu instid0(VALU_DEP_2) | instskip(NEXT) | instid1(VALU_DEP_2)
	v_add_f32_e32 v17, v86, v19
	v_add_f32_e32 v19, v23, v20
	v_fma_f32 v20, 0xbf75a155, v64, -v94
	v_add_f32_e32 v23, v1, v91
	s_delay_alu instid0(VALU_DEP_4) | instskip(SKIP_1) | instid1(VALU_DEP_4)
	v_add_f32_e32 v18, v89, v17
	v_fma_f32 v17, 0xbe11bafb, v49, -v98
	v_add_f32_e32 v19, v20, v19
	v_fma_f32 v20, 0x3ed4b147, v81, -v96
	s_delay_alu instid0(VALU_DEP_3) | instskip(NEXT) | instid1(VALU_DEP_2)
	v_dual_add_f32 v23, v93, v23 :: v_dual_add_f32 v24, v0, v17
	v_add_f32_e32 v17, v20, v19
	s_delay_alu instid0(VALU_DEP_2) | instskip(SKIP_1) | instid1(VALU_DEP_4)
	v_add_f32_e32 v19, v95, v23
	v_fma_f32 v23, 0x3ed4b147, v60, -v103
	v_add_f32_e32 v20, v25, v24
	v_add_f32_e32 v24, v1, v99
	v_fma_f32 v25, 0x3f575c64, v64, -v105
	v_add_f32_e32 v19, v97, v19
	v_add_f32_e32 v1, v1, v29
	;; [unrolled: 1-line block ×4, first 2 shown]
	s_delay_alu instid0(VALU_DEP_4) | instskip(SKIP_1) | instid1(VALU_DEP_4)
	v_add_f32_e32 v20, v100, v19
	v_fma_f32 v19, 0x3ed4b147, v49, -v110
	v_add_f32_e32 v23, v25, v23
	v_fma_f32 v25, 0xbf27a4f4, v81, -v108
	v_add_f32_e32 v24, v107, v24
	s_delay_alu instid0(VALU_DEP_4) | instskip(NEXT) | instid1(VALU_DEP_3)
	v_dual_add_f32 v1, v115, v1 :: v_dual_add_f32 v26, v0, v19
	v_add_f32_e32 v19, v25, v23
	s_delay_alu instid0(VALU_DEP_3) | instskip(SKIP_1) | instid1(VALU_DEP_4)
	v_add_f32_e32 v23, v109, v24
	v_fma_f32 v24, 0x3f575c64, v49, -v28
	v_add_f32_e32 v25, v27, v26
	v_fma_f32 v26, 0xbf75a155, v60, -v114
	s_delay_alu instid0(VALU_DEP_3) | instskip(NEXT) | instid1(VALU_DEP_2)
	v_dual_add_f32 v1, v39, v1 :: v_dual_add_f32 v0, v0, v24
	v_add_f32_e32 v24, v26, v25
	v_fma_f32 v25, 0xbe11bafb, v64, -v113
	s_delay_alu instid0(VALU_DEP_3) | instskip(NEXT) | instid1(VALU_DEP_4)
	v_add_f32_e32 v26, v52, v1
	v_add_f32_e32 v0, v2, v0
	v_fma_f32 v2, 0xbe11bafb, v60, -v31
	s_delay_alu instid0(VALU_DEP_4) | instskip(SKIP_1) | instid1(VALU_DEP_3)
	v_dual_add_f32 v1, v111, v23 :: v_dual_add_f32 v24, v25, v24
	v_mul_u32_u24_e32 v25, 0x1ce, v87
	v_add_f32_e32 v0, v2, v0
	v_fma_f32 v2, 0xbf27a4f4, v64, -v37
	s_delay_alu instid0(VALU_DEP_3) | instskip(NEXT) | instid1(VALU_DEP_2)
	v_add_lshl_u32 v25, v25, v85, 3
	v_add_f32_e32 v2, v2, v0
	s_delay_alu instid0(VALU_DEP_2) | instskip(SKIP_1) | instid1(VALU_DEP_3)
	v_dual_add_f32 v0, v22, v24 :: v_dual_add_nc_u32 v23, 0x800, v25
	v_add_f32_e32 v22, v55, v26
	v_dual_add_f32 v21, v21, v2 :: v_dual_add_nc_u32 v2, 0x400, v25
	ds_store_2addr_b64 v25, v[13:14], v[11:12] offset1:42
	ds_store_2addr_b64 v25, v[9:10], v[7:8] offset0:84 offset1:126
	ds_store_2addr_b64 v25, v[5:6], v[3:4] offset0:168 offset1:210
	;; [unrolled: 1-line block ×4, first 2 shown]
	ds_store_b64 v25, v[21:22] offset:3360
.LBB0_17:
	s_wait_alu 0xfffe
	s_or_b32 exec_lo, exec_lo, s1
	v_add_nc_u32_e32 v12, 0xe00, v84
	v_add_nc_u32_e32 v13, 0x1c80, v84
	global_wb scope:SCOPE_SE
	s_wait_dscnt 0x0
	s_barrier_signal -1
	s_barrier_wait -1
	global_inv scope:SCOPE_SE
	ds_load_2addr_b64 v[0:3], v12 offset0:14 offset1:245
	ds_load_2addr_b64 v[4:7], v13 offset0:12 offset1:243
	ds_load_2addr_b64 v[8:11], v84 offset1:231
	v_mad_co_u64_u32 v[24:25], null, s6, v68, 0
	v_mad_co_u64_u32 v[26:27], null, s4, v83, 0
	s_mov_b32 s0, 0x5e918c
	s_mov_b32 s1, 0x3f47a463
	s_delay_alu instid0(VALU_DEP_1)
	v_mad_co_u64_u32 v[28:29], null, s7, v68, v[25:26]
	s_wait_dscnt 0x2
	v_mul_f32_e32 v14, v41, v1
	s_wait_dscnt 0x1
	v_dual_mul_f32 v15, v41, v0 :: v_dual_mul_f32 v16, v43, v5
	v_dual_mul_f32 v17, v43, v4 :: v_dual_mul_f32 v18, v45, v3
	v_mul_f32_e32 v19, v45, v2
	v_dual_mul_f32 v21, v47, v6 :: v_dual_fmac_f32 v14, v40, v0
	v_mul_f32_e32 v20, v47, v7
	v_fma_f32 v0, v40, v1, -v15
	v_fma_f32 v1, v42, v5, -v17
	v_fmac_f32_e32 v16, v42, v4
	v_fma_f32 v7, v46, v7, -v21
	v_fmac_f32_e32 v18, v44, v2
	v_fma_f32 v2, v44, v3, -v19
	s_wait_dscnt 0x0
	v_add_f32_e32 v3, v8, v14
	v_dual_fmac_f32 v20, v46, v6 :: v_dual_add_f32 v15, v0, v1
	v_sub_f32_e32 v5, v0, v1
	v_dual_sub_f32 v21, v2, v7 :: v_dual_add_f32 v6, v9, v0
	v_add_f32_e32 v17, v10, v18
	v_dual_add_f32 v23, v2, v7 :: v_dual_add_f32 v0, v3, v16
	v_add_f32_e32 v4, v14, v16
	v_sub_f32_e32 v14, v14, v16
	v_dual_add_f32 v19, v18, v20 :: v_dual_add_f32 v22, v11, v2
	v_fma_f32 v3, -0.5, v15, v9
	v_fmac_f32_e32 v11, -0.5, v23
	v_fma_f32 v2, -0.5, v4, v8
	v_add_f32_e32 v1, v6, v1
	v_fma_f32 v10, -0.5, v19, v10
	v_dual_add_f32 v6, v17, v20 :: v_dual_add_f32 v7, v22, v7
	s_delay_alu instid0(VALU_DEP_4)
	v_fmamk_f32 v4, v5, 0xbf5db3d7, v2
	v_dual_fmac_f32 v2, 0x3f5db3d7, v5 :: v_dual_fmamk_f32 v5, v14, 0x3f5db3d7, v3
	v_dual_fmac_f32 v3, 0xbf5db3d7, v14 :: v_dual_sub_f32 v14, v18, v20
	v_fmamk_f32 v8, v21, 0xbf5db3d7, v10
	v_fmac_f32_e32 v10, 0x3f5db3d7, v21
	v_mad_co_u64_u32 v[29:30], null, s5, v83, v[27:28]
	s_delay_alu instid0(VALU_DEP_4)
	v_fmamk_f32 v9, v14, 0x3f5db3d7, v11
	v_fmac_f32_e32 v11, 0xbf5db3d7, v14
	ds_store_b64 v84, v[4:5] offset:3696
	ds_store_b64 v84, v[2:3] offset:7392
	ds_store_2addr_b64 v84, v[0:1], v[6:7] offset1:231
	ds_store_b64 v84, v[8:9] offset:5544
	ds_store_b64 v84, v[10:11] offset:9240
	global_wb scope:SCOPE_SE
	s_wait_dscnt 0x0
	s_barrier_signal -1
	s_barrier_wait -1
	global_inv scope:SCOPE_SE
	ds_load_2addr_b64 v[0:3], v84 offset1:231
	ds_load_2addr_b64 v[4:7], v12 offset0:14 offset1:245
	ds_load_2addr_b64 v[8:11], v13 offset0:12 offset1:243
	v_mov_b32_e32 v25, v28
	v_mov_b32_e32 v27, v29
	s_delay_alu instid0(VALU_DEP_2) | instskip(NEXT) | instid1(VALU_DEP_2)
	v_lshlrev_b64_e32 v[24:25], 3, v[24:25]
	v_lshlrev_b64_e32 v[26:27], 3, v[26:27]
	s_delay_alu instid0(VALU_DEP_2) | instskip(SKIP_2) | instid1(VALU_DEP_3)
	v_add_co_u32 v24, vcc_lo, s2, v24
	s_mul_i32 s2, s5, 0xfffff190
	s_wait_alu 0xfffd
	v_add_co_ci_u32_e32 v25, vcc_lo, s3, v25, vcc_lo
	s_wait_alu 0xfffe
	s_sub_co_i32 s2, s2, s4
	s_wait_dscnt 0x1
	v_dual_mul_f32 v12, v76, v1 :: v_dual_mul_f32 v15, v78, v6
	s_wait_dscnt 0x0
	v_dual_mul_f32 v18, v70, v9 :: v_dual_mul_f32 v21, v72, v4
	v_dual_mul_f32 v13, v76, v0 :: v_dual_mul_f32 v14, v78, v7
	s_delay_alu instid0(VALU_DEP_3) | instskip(SKIP_1) | instid1(VALU_DEP_4)
	v_fmac_f32_e32 v12, v75, v0
	v_dual_mul_f32 v16, v80, v3 :: v_dual_mul_f32 v23, v74, v10
	v_dual_mul_f32 v17, v80, v2 :: v_dual_fmac_f32 v18, v69, v8
	v_mul_f32_e32 v8, v70, v8
	v_mul_f32_e32 v20, v72, v5
	v_fma_f32 v13, v75, v1, -v13
	v_mul_f32_e32 v22, v74, v11
	v_fmac_f32_e32 v14, v77, v6
	v_fma_f32 v15, v77, v7, -v15
	v_fmac_f32_e32 v16, v79, v2
	v_fma_f32 v17, v79, v3, -v17
	v_fma_f32 v8, v69, v9, -v8
	v_fmac_f32_e32 v20, v71, v4
	v_fma_f32 v21, v71, v5, -v21
	v_cvt_f64_f32_e32 v[0:1], v12
	v_cvt_f64_f32_e32 v[2:3], v13
	v_fmac_f32_e32 v22, v73, v10
	v_fma_f32 v23, v73, v11, -v23
	v_cvt_f64_f32_e32 v[6:7], v14
	v_cvt_f64_f32_e32 v[12:13], v15
	;; [unrolled: 1-line block ×10, first 2 shown]
	v_add_co_u32 v24, vcc_lo, v24, v26
	s_wait_alu 0xfffd
	v_add_co_ci_u32_e32 v25, vcc_lo, v25, v27, vcc_lo
	v_mul_f64_e32 v[0:1], s[0:1], v[0:1]
	v_mul_f64_e32 v[2:3], s[0:1], v[2:3]
	;; [unrolled: 1-line block ×12, first 2 shown]
	s_mul_u64 s[0:1], s[4:5], 0x15a8
	s_wait_alu 0xfffe
	v_add_co_u32 v26, vcc_lo, v24, s0
	s_wait_alu 0xfffd
	v_add_co_ci_u32_e32 v27, vcc_lo, s1, v25, vcc_lo
	v_cvt_f32_f64_e32 v0, v[0:1]
	v_cvt_f32_f64_e32 v1, v[2:3]
	v_cvt_f32_f64_e32 v2, v[6:7]
	v_cvt_f32_f64_e32 v3, v[12:13]
	v_cvt_f32_f64_e32 v6, v[14:15]
	v_cvt_f32_f64_e32 v7, v[16:17]
	v_cvt_f32_f64_e32 v12, v[18:19]
	v_cvt_f32_f64_e32 v13, v[4:5]
	v_cvt_f32_f64_e32 v4, v[8:9]
	v_cvt_f32_f64_e32 v5, v[10:11]
	v_cvt_f32_f64_e32 v8, v[20:21]
	v_cvt_f32_f64_e32 v9, v[22:23]
	v_mad_co_u64_u32 v[10:11], null, 0xfffff190, s4, v[26:27]
	s_delay_alu instid0(VALU_DEP_1) | instskip(NEXT) | instid1(VALU_DEP_2)
	v_add_nc_u32_e32 v11, s2, v11
	v_add_co_u32 v14, vcc_lo, v10, s0
	s_wait_alu 0xfffd
	s_delay_alu instid0(VALU_DEP_2) | instskip(NEXT) | instid1(VALU_DEP_1)
	v_add_co_ci_u32_e32 v15, vcc_lo, s1, v11, vcc_lo
	v_mad_co_u64_u32 v[16:17], null, 0xfffff190, s4, v[14:15]
	s_delay_alu instid0(VALU_DEP_1) | instskip(NEXT) | instid1(VALU_DEP_2)
	v_add_nc_u32_e32 v17, s2, v17
	v_add_co_u32 v18, vcc_lo, v16, s0
	s_wait_alu 0xfffd
	s_delay_alu instid0(VALU_DEP_2)
	v_add_co_ci_u32_e32 v19, vcc_lo, s1, v17, vcc_lo
	s_clause 0x4
	global_store_b64 v[24:25], v[0:1], off
	global_store_b64 v[26:27], v[2:3], off
	;; [unrolled: 1-line block ×6, first 2 shown]
.LBB0_18:
	s_nop 0
	s_sendmsg sendmsg(MSG_DEALLOC_VGPRS)
	s_endpgm
	.section	.rodata,"a",@progbits
	.p2align	6, 0x0
	.amdhsa_kernel bluestein_single_back_len1386_dim1_sp_op_CI_CI
		.amdhsa_group_segment_fixed_size 11088
		.amdhsa_private_segment_fixed_size 0
		.amdhsa_kernarg_size 104
		.amdhsa_user_sgpr_count 2
		.amdhsa_user_sgpr_dispatch_ptr 0
		.amdhsa_user_sgpr_queue_ptr 0
		.amdhsa_user_sgpr_kernarg_segment_ptr 1
		.amdhsa_user_sgpr_dispatch_id 0
		.amdhsa_user_sgpr_private_segment_size 0
		.amdhsa_wavefront_size32 1
		.amdhsa_uses_dynamic_stack 0
		.amdhsa_enable_private_segment 0
		.amdhsa_system_sgpr_workgroup_id_x 1
		.amdhsa_system_sgpr_workgroup_id_y 0
		.amdhsa_system_sgpr_workgroup_id_z 0
		.amdhsa_system_sgpr_workgroup_info 0
		.amdhsa_system_vgpr_workitem_id 0
		.amdhsa_next_free_vgpr 198
		.amdhsa_next_free_sgpr 16
		.amdhsa_reserve_vcc 1
		.amdhsa_float_round_mode_32 0
		.amdhsa_float_round_mode_16_64 0
		.amdhsa_float_denorm_mode_32 3
		.amdhsa_float_denorm_mode_16_64 3
		.amdhsa_fp16_overflow 0
		.amdhsa_workgroup_processor_mode 1
		.amdhsa_memory_ordered 1
		.amdhsa_forward_progress 0
		.amdhsa_round_robin_scheduling 0
		.amdhsa_exception_fp_ieee_invalid_op 0
		.amdhsa_exception_fp_denorm_src 0
		.amdhsa_exception_fp_ieee_div_zero 0
		.amdhsa_exception_fp_ieee_overflow 0
		.amdhsa_exception_fp_ieee_underflow 0
		.amdhsa_exception_fp_ieee_inexact 0
		.amdhsa_exception_int_div_zero 0
	.end_amdhsa_kernel
	.text
.Lfunc_end0:
	.size	bluestein_single_back_len1386_dim1_sp_op_CI_CI, .Lfunc_end0-bluestein_single_back_len1386_dim1_sp_op_CI_CI
                                        ; -- End function
	.section	.AMDGPU.csdata,"",@progbits
; Kernel info:
; codeLenInByte = 10920
; NumSgprs: 18
; NumVgprs: 198
; ScratchSize: 0
; MemoryBound: 0
; FloatMode: 240
; IeeeMode: 1
; LDSByteSize: 11088 bytes/workgroup (compile time only)
; SGPRBlocks: 2
; VGPRBlocks: 24
; NumSGPRsForWavesPerEU: 18
; NumVGPRsForWavesPerEU: 198
; Occupancy: 7
; WaveLimiterHint : 1
; COMPUTE_PGM_RSRC2:SCRATCH_EN: 0
; COMPUTE_PGM_RSRC2:USER_SGPR: 2
; COMPUTE_PGM_RSRC2:TRAP_HANDLER: 0
; COMPUTE_PGM_RSRC2:TGID_X_EN: 1
; COMPUTE_PGM_RSRC2:TGID_Y_EN: 0
; COMPUTE_PGM_RSRC2:TGID_Z_EN: 0
; COMPUTE_PGM_RSRC2:TIDIG_COMP_CNT: 0
	.text
	.p2alignl 7, 3214868480
	.fill 96, 4, 3214868480
	.type	__hip_cuid_1fe6d7a07789505b,@object ; @__hip_cuid_1fe6d7a07789505b
	.section	.bss,"aw",@nobits
	.globl	__hip_cuid_1fe6d7a07789505b
__hip_cuid_1fe6d7a07789505b:
	.byte	0                               ; 0x0
	.size	__hip_cuid_1fe6d7a07789505b, 1

	.ident	"AMD clang version 19.0.0git (https://github.com/RadeonOpenCompute/llvm-project roc-6.4.0 25133 c7fe45cf4b819c5991fe208aaa96edf142730f1d)"
	.section	".note.GNU-stack","",@progbits
	.addrsig
	.addrsig_sym __hip_cuid_1fe6d7a07789505b
	.amdgpu_metadata
---
amdhsa.kernels:
  - .args:
      - .actual_access:  read_only
        .address_space:  global
        .offset:         0
        .size:           8
        .value_kind:     global_buffer
      - .actual_access:  read_only
        .address_space:  global
        .offset:         8
        .size:           8
        .value_kind:     global_buffer
      - .actual_access:  read_only
        .address_space:  global
        .offset:         16
        .size:           8
        .value_kind:     global_buffer
      - .actual_access:  read_only
        .address_space:  global
        .offset:         24
        .size:           8
        .value_kind:     global_buffer
      - .actual_access:  read_only
        .address_space:  global
        .offset:         32
        .size:           8
        .value_kind:     global_buffer
      - .offset:         40
        .size:           8
        .value_kind:     by_value
      - .address_space:  global
        .offset:         48
        .size:           8
        .value_kind:     global_buffer
      - .address_space:  global
        .offset:         56
        .size:           8
        .value_kind:     global_buffer
      - .address_space:  global
        .offset:         64
        .size:           8
        .value_kind:     global_buffer
      - .address_space:  global
        .offset:         72
        .size:           8
        .value_kind:     global_buffer
      - .offset:         80
        .size:           4
        .value_kind:     by_value
      - .address_space:  global
        .offset:         88
        .size:           8
        .value_kind:     global_buffer
      - .address_space:  global
        .offset:         96
        .size:           8
        .value_kind:     global_buffer
    .group_segment_fixed_size: 11088
    .kernarg_segment_align: 8
    .kernarg_segment_size: 104
    .language:       OpenCL C
    .language_version:
      - 2
      - 0
    .max_flat_workgroup_size: 231
    .name:           bluestein_single_back_len1386_dim1_sp_op_CI_CI
    .private_segment_fixed_size: 0
    .sgpr_count:     18
    .sgpr_spill_count: 0
    .symbol:         bluestein_single_back_len1386_dim1_sp_op_CI_CI.kd
    .uniform_work_group_size: 1
    .uses_dynamic_stack: false
    .vgpr_count:     198
    .vgpr_spill_count: 0
    .wavefront_size: 32
    .workgroup_processor_mode: 1
amdhsa.target:   amdgcn-amd-amdhsa--gfx1201
amdhsa.version:
  - 1
  - 2
...

	.end_amdgpu_metadata
